;; amdgpu-corpus repo=pytorch/pytorch kind=compiled arch=gfx1030 opt=O3
	.amdgcn_target "amdgcn-amd-amdhsa--gfx1030"
	.amdhsa_code_object_version 6
	.section	.text._ZN12_GLOBAL__N_141elementwise_kernel_with_index_grid_strideIiZZZN2at6native17linspace_cuda_outERKN3c106ScalarES6_lRNS1_6TensorEENKUlvE_clEvENKUlvE_clEvEUllE_EEvT_T0_PN15function_traitsISD_E11result_typeE,"axG",@progbits,_ZN12_GLOBAL__N_141elementwise_kernel_with_index_grid_strideIiZZZN2at6native17linspace_cuda_outERKN3c106ScalarES6_lRNS1_6TensorEENKUlvE_clEvENKUlvE_clEvEUllE_EEvT_T0_PN15function_traitsISD_E11result_typeE,comdat
	.globl	_ZN12_GLOBAL__N_141elementwise_kernel_with_index_grid_strideIiZZZN2at6native17linspace_cuda_outERKN3c106ScalarES6_lRNS1_6TensorEENKUlvE_clEvENKUlvE_clEvEUllE_EEvT_T0_PN15function_traitsISD_E11result_typeE ; -- Begin function _ZN12_GLOBAL__N_141elementwise_kernel_with_index_grid_strideIiZZZN2at6native17linspace_cuda_outERKN3c106ScalarES6_lRNS1_6TensorEENKUlvE_clEvENKUlvE_clEvEUllE_EEvT_T0_PN15function_traitsISD_E11result_typeE
	.p2align	8
	.type	_ZN12_GLOBAL__N_141elementwise_kernel_with_index_grid_strideIiZZZN2at6native17linspace_cuda_outERKN3c106ScalarES6_lRNS1_6TensorEENKUlvE_clEvENKUlvE_clEvEUllE_EEvT_T0_PN15function_traitsISD_E11result_typeE,@function
_ZN12_GLOBAL__N_141elementwise_kernel_with_index_grid_strideIiZZZN2at6native17linspace_cuda_outERKN3c106ScalarES6_lRNS1_6TensorEENKUlvE_clEvENKUlvE_clEvEUllE_EEvT_T0_PN15function_traitsISD_E11result_typeE: ; @_ZN12_GLOBAL__N_141elementwise_kernel_with_index_grid_strideIiZZZN2at6native17linspace_cuda_outERKN3c106ScalarES6_lRNS1_6TensorEENKUlvE_clEvENKUlvE_clEvEUllE_EEvT_T0_PN15function_traitsISD_E11result_typeE
; %bb.0:
	s_clause 0x1
	s_load_dword s2, s[4:5], 0x3c
	s_load_dword s20, s[4:5], 0x0
	s_add_u32 s0, s4, 48
	s_addc_u32 s1, s5, 0
	s_mov_b32 s3, exec_lo
	s_waitcnt lgkmcnt(0)
	s_and_b32 s2, s2, 0xffff
	v_mad_u64_u32 v[1:2], null, s6, s2, v[0:1]
	v_cmpx_gt_i32_e64 s20, v1
	s_cbranch_execz .LBB0_12
; %bb.1:
	s_load_dword s0, s[0:1], 0x0
	s_mov_b32 s24, 0
	s_mov_b32 s23, exec_lo
	s_waitcnt lgkmcnt(0)
	s_mul_i32 s21, s0, s2
	s_add_i32 s0, s6, s0
	v_cvt_f32_u32_e32 v2, s21
	s_sub_i32 s1, 0, s21
	s_mul_i32 s0, s0, s2
	s_clause 0x2
	s_load_dwordx2 s[6:7], s[4:5], 0x10
	s_load_dword s22, s[4:5], 0x18
	s_load_dwordx4 s[8:11], s[4:5], 0x20
	v_add_nc_u32_e32 v4, s0, v0
	v_rcp_iflag_f32_e32 v2, v2
	v_cmp_gt_i32_e32 vcc_lo, s20, v4
	v_max_i32_e32 v5, s20, v4
	v_add_co_ci_u32_e64 v0, null, s0, v0, vcc_lo
	v_mul_f32_e32 v2, 0x4f7ffffe, v2
	v_sub_nc_u32_e32 v0, v5, v0
	v_cvt_u32_f32_e32 v2, v2
	v_mul_lo_u32 v3, s1, v2
	s_load_dword s1, s[4:5], 0x8
	v_mul_hi_u32 v3, v2, v3
	v_add_nc_u32_e32 v2, v2, v3
	s_waitcnt lgkmcnt(0)
	v_cvt_f32_ubyte0_e32 v6, s1
	v_mul_hi_u32 v2, v0, v2
	v_mul_lo_u32 v3, v2, s21
	v_sub_nc_u32_e32 v0, v0, v3
	v_add_nc_u32_e32 v3, 1, v2
	v_subrev_nc_u32_e32 v4, s21, v0
	v_cmp_le_u32_e64 s0, s21, v0
	v_cndmask_b32_e64 v2, v2, v3, s0
	v_cndmask_b32_e64 v0, v0, v4, s0
	v_add_nc_u32_e32 v3, 1, v2
	v_cmp_le_u32_e64 s0, s21, v0
	v_cndmask_b32_e64 v0, v2, v3, s0
	s_mov_b32 s0, -1
	v_add_co_ci_u32_e64 v7, null, 1, v0, vcc_lo
	v_cvt_f32_ubyte1_e32 v0, s1
	v_cmpx_lt_u32_e32 3, v7
	s_cbranch_execz .LBB0_5
; %bb.2:
	v_add_nc_u32_e32 v2, s21, v1
	v_and_b32_e32 v8, -4, v7
	v_lshl_add_u32 v3, s21, 1, v1
	s_lshl_b32 s35, s21, 2
	s_mov_b32 s12, s8
	v_mad_u64_u32 v[4:5], null, s21, 3, v[1:2]
	v_mov_b32_e32 v9, v8
	s_mov_b32 s13, s9
	s_mov_b32 s14, s8
	s_mov_b32 s15, s9
	s_mov_b32 s16, s8
	s_mov_b32 s17, s9
	v_mov_b32_e32 v5, v4
	v_mov_b32_e32 v4, v3
	v_mov_b32_e32 v3, v2
	v_mov_b32_e32 v2, v1
	s_mov_b32 s18, s8
	s_mov_b32 s19, s9
	;; [unrolled: 1-line block ×14, first 2 shown]
.LBB0_3:                                ; =>This Inner Loop Header: Depth=1
	v_not_b32_e32 v19, v4
	v_not_b32_e32 v21, v3
	;; [unrolled: 1-line block ×3, first 2 shown]
	v_ashrrev_i32_e32 v11, 31, v2
	v_not_b32_e32 v26, v5
	v_cvt_f32_i32_e32 v28, v2
	v_cvt_f32_i32_e32 v30, v3
	;; [unrolled: 1-line block ×3, first 2 shown]
	v_ashrrev_i32_e32 v33, 31, v23
	v_ashrrev_i32_e32 v34, 31, v21
	;; [unrolled: 1-line block ×3, first 2 shown]
	v_add_co_u32 v18, vcc_lo, s10, v2
	v_add_co_u32 v25, s3, s27, v19
	v_add_co_u32 v27, s4, s25, v21
	v_add_co_u32 v29, s5, s6, v23
	v_ashrrev_i32_e32 v36, 31, v26
	v_fma_f32 v38, s33, v31, v6
	v_fma_f32 v39, s31, v30, v6
	;; [unrolled: 1-line block ×3, first 2 shown]
	v_add_co_ci_u32_e64 v19, null, s11, v11, vcc_lo
	v_add_co_u32 v31, vcc_lo, s29, v26
	v_add_co_ci_u32_e64 v30, null, s7, v33, s5
	v_add_co_ci_u32_e64 v28, null, s26, v34, s4
	;; [unrolled: 1-line block ×3, first 2 shown]
	v_cvt_f32_i32_e32 v32, v5
	v_xor_b32_e32 v33, v29, v30
	v_xor_b32_e32 v35, v27, v28
	;; [unrolled: 1-line block ×3, first 2 shown]
	v_ffbh_i32_e32 v34, v30
	v_fma_f32 v37, s34, v32, v6
	v_add_co_ci_u32_e64 v32, null, s30, v36, vcc_lo
	v_ffbh_i32_e32 v36, v28
	v_ffbh_i32_e32 v42, v26
	v_ashrrev_i32_e32 v33, 31, v33
	v_ashrrev_i32_e32 v35, 31, v35
	;; [unrolled: 1-line block ×3, first 2 shown]
	v_xor_b32_e32 v43, v31, v32
	v_add_nc_u32_e32 v34, -1, v34
	v_add_nc_u32_e32 v36, -1, v36
	v_add_nc_u32_e32 v42, -1, v42
	v_add_nc_u32_e32 v33, 32, v33
	v_add_nc_u32_e32 v35, 32, v35
	;; [unrolled: 1-line block ×3, first 2 shown]
	v_ffbh_i32_e32 v44, v32
	v_ashrrev_i32_e32 v43, 31, v43
	v_min_u32_e32 v33, v34, v33
	v_min_u32_e32 v35, v36, v35
	;; [unrolled: 1-line block ×3, first 2 shown]
	v_add_nc_u32_e32 v44, -1, v44
	v_add_nc_u32_e32 v43, 32, v43
	v_lshlrev_b64 v[29:30], v33, v[29:30]
	v_lshlrev_b64 v[27:28], v35, v[27:28]
	;; [unrolled: 1-line block ×3, first 2 shown]
	v_sub_nc_u32_e32 v33, 32, v33
	v_min_u32_e32 v34, v44, v43
	v_sub_nc_u32_e32 v35, 32, v35
	v_min_u32_e32 v29, 1, v29
	v_min_u32_e32 v27, 1, v27
	;; [unrolled: 1-line block ×3, first 2 shown]
	v_lshlrev_b64 v[31:32], v34, v[31:32]
	v_sub_nc_u32_e32 v36, 32, v36
	v_mov_b32_e32 v10, v2
	v_ashrrev_i32_e32 v13, 31, v3
	v_or_b32_e32 v25, v26, v25
	v_or_b32_e32 v26, v28, v27
	;; [unrolled: 1-line block ×3, first 2 shown]
	v_min_u32_e32 v31, 1, v31
	v_mov_b32_e32 v12, v3
	v_cvt_f32_i32_e32 v25, v25
	v_cvt_f32_i32_e32 v26, v26
	;; [unrolled: 1-line block ×3, first 2 shown]
	v_or_b32_e32 v31, v32, v31
	v_ashrrev_i32_e32 v15, 31, v4
	v_ashrrev_i32_e32 v17, 31, v5
	v_mov_b32_e32 v16, v5
	v_ldexp_f32 v25, v25, v36
	v_ldexp_f32 v26, v26, v35
	;; [unrolled: 1-line block ×3, first 2 shown]
	v_add_co_u32 v22, s1, s10, v4
	v_sub_nc_u32_e32 v34, 32, v34
	v_cvt_f32_i32_e32 v28, v31
	v_add_co_ci_u32_e64 v23, null, s11, v15, s1
	v_cmp_gt_i64_e64 s1, s[12:13], v[10:11]
	v_cmp_gt_i64_e64 s3, s[14:15], v[12:13]
	v_cmp_gt_i64_e32 vcc_lo, s[18:19], v[16:17]
	v_fma_f32 v16, -s33, v25, v0
	v_fma_f32 v25, -s31, v26, v0
	;; [unrolled: 1-line block ×3, first 2 shown]
	v_mov_b32_e32 v14, v4
	v_ldexp_f32 v28, v28, v34
	v_add_co_u32 v20, s0, s10, v3
	v_cndmask_b32_e64 v10, v25, v39, s3
	v_cndmask_b32_e64 v11, v26, v40, s1
	v_add_co_ci_u32_e64 v21, null, s11, v13, s0
	v_cmp_gt_i64_e64 s0, s[16:17], v[14:15]
	v_fma_f32 v28, -s34, v28, v0
	v_cvt_i32_f32_sdwa v10, v10 dst_sel:BYTE_1 dst_unused:UNUSED_PAD src0_sel:DWORD
	v_cvt_i32_f32_e32 v11, v11
	v_add_nc_u32_e32 v9, -4, v9
	v_add_co_u32 v24, s2, s10, v5
	v_cndmask_b32_e64 v12, v16, v38, s0
	v_cndmask_b32_e32 v13, v28, v37, vcc_lo
	v_or_b32_e32 v10, v11, v10
	v_cmp_eq_u32_e32 vcc_lo, 0, v9
	v_add_nc_u32_e32 v5, s38, v5
	v_cvt_i32_f32_e32 v12, v12
	v_cvt_i32_f32_sdwa v13, v13 dst_sel:BYTE_1 dst_unused:UNUSED_PAD src0_sel:DWORD
	v_and_b32_e32 v10, 0xffff, v10
	v_add_nc_u32_e32 v4, s37, v4
	v_add_nc_u32_e32 v3, s36, v3
	;; [unrolled: 1-line block ×3, first 2 shown]
	v_or_b32_e32 v11, v12, v13
	v_lshrrev_b32_e32 v13, 8, v10
	v_add_co_ci_u32_e64 v25, null, s11, v17, s2
	s_or_b32 s24, vcc_lo, s24
	v_lshrrev_b32_e32 v12, 8, v11
	global_store_byte v[18:19], v10, off
	global_store_byte v[20:21], v13, off
	;; [unrolled: 1-line block ×4, first 2 shown]
	s_andn2_b32 exec_lo, exec_lo, s24
	s_cbranch_execnz .LBB0_3
; %bb.4:
	s_or_b32 exec_lo, exec_lo, s24
	v_mad_u64_u32 v[1:2], null, v8, s21, v[1:2]
	v_cmp_ne_u32_e32 vcc_lo, v7, v8
	s_orn2_b32 s0, vcc_lo, exec_lo
.LBB0_5:
	s_or_b32 exec_lo, exec_lo, s23
	s_and_b32 exec_lo, exec_lo, s0
	s_cbranch_execz .LBB0_12
; %bb.6:
	v_ashrrev_i32_e32 v2, 31, v1
	v_not_b32_e32 v3, v1
	s_ashr_i32 s1, s21, 31
	s_mov_b32 s2, 0
	v_not_b32_e32 v4, v2
	v_add_co_u32 v3, vcc_lo, v3, s6
	v_add_co_ci_u32_e64 v4, null, s7, v4, vcc_lo
	s_inst_prefetch 0x1
	s_branch .LBB0_8
	.p2align	6
.LBB0_7:                                ;   in Loop: Header=BB0_8 Depth=1
	s_or_b32 exec_lo, exec_lo, s0
	v_add_co_u32 v7, vcc_lo, s10, v1
	v_add_co_u32 v1, s0, v1, s21
	v_add_co_ci_u32_e64 v8, null, s11, v2, vcc_lo
	v_add_co_ci_u32_e64 v2, null, s1, v2, s0
	v_cmp_le_i32_e32 vcc_lo, s20, v1
	v_sub_co_u32 v3, s0, v3, s21
	v_cvt_i32_f32_e32 v5, v5
	v_subrev_co_ci_u32_e64 v4, null, s1, v4, s0
	s_or_b32 s2, vcc_lo, s2
	global_store_byte v[7:8], v5, off
	s_andn2_b32 exec_lo, exec_lo, s2
	s_cbranch_execz .LBB0_12
.LBB0_8:                                ; =>This Inner Loop Header: Depth=1
	s_mov_b32 s0, exec_lo
                                        ; implicit-def: $vgpr5
	v_cmpx_le_i64_e64 s[8:9], v[1:2]
	s_xor_b32 s0, exec_lo, s0
	s_cbranch_execz .LBB0_10
; %bb.9:                                ;   in Loop: Header=BB0_8 Depth=1
	v_xor_b32_e32 v5, v3, v4
	v_ffbh_i32_e32 v7, v4
	v_ashrrev_i32_e32 v5, 31, v5
	v_add_nc_u32_e32 v7, -1, v7
	v_add_nc_u32_e32 v5, 32, v5
	v_min_u32_e32 v5, v7, v5
	v_lshlrev_b64 v[7:8], v5, v[3:4]
	v_sub_nc_u32_e32 v5, 32, v5
	v_min_u32_e32 v7, 1, v7
	v_or_b32_e32 v7, v8, v7
	v_cvt_f32_i32_e32 v7, v7
	v_ldexp_f32 v5, v7, v5
	v_fma_f32 v5, -s22, v5, v0
.LBB0_10:                               ;   in Loop: Header=BB0_8 Depth=1
	s_andn2_saveexec_b32 s0, s0
	s_cbranch_execz .LBB0_7
; %bb.11:                               ;   in Loop: Header=BB0_8 Depth=1
	v_cvt_f32_i32_e32 v5, v1
	v_fma_f32 v5, s22, v5, v6
	s_branch .LBB0_7
.LBB0_12:
	s_inst_prefetch 0x2
	s_endpgm
	.section	.rodata,"a",@progbits
	.p2align	6, 0x0
	.amdhsa_kernel _ZN12_GLOBAL__N_141elementwise_kernel_with_index_grid_strideIiZZZN2at6native17linspace_cuda_outERKN3c106ScalarES6_lRNS1_6TensorEENKUlvE_clEvENKUlvE_clEvEUllE_EEvT_T0_PN15function_traitsISD_E11result_typeE
		.amdhsa_group_segment_fixed_size 0
		.amdhsa_private_segment_fixed_size 0
		.amdhsa_kernarg_size 304
		.amdhsa_user_sgpr_count 6
		.amdhsa_user_sgpr_private_segment_buffer 1
		.amdhsa_user_sgpr_dispatch_ptr 0
		.amdhsa_user_sgpr_queue_ptr 0
		.amdhsa_user_sgpr_kernarg_segment_ptr 1
		.amdhsa_user_sgpr_dispatch_id 0
		.amdhsa_user_sgpr_flat_scratch_init 0
		.amdhsa_user_sgpr_private_segment_size 0
		.amdhsa_wavefront_size32 1
		.amdhsa_uses_dynamic_stack 0
		.amdhsa_system_sgpr_private_segment_wavefront_offset 0
		.amdhsa_system_sgpr_workgroup_id_x 1
		.amdhsa_system_sgpr_workgroup_id_y 0
		.amdhsa_system_sgpr_workgroup_id_z 0
		.amdhsa_system_sgpr_workgroup_info 0
		.amdhsa_system_vgpr_workitem_id 0
		.amdhsa_next_free_vgpr 45
		.amdhsa_next_free_sgpr 39
		.amdhsa_reserve_vcc 1
		.amdhsa_reserve_flat_scratch 0
		.amdhsa_float_round_mode_32 0
		.amdhsa_float_round_mode_16_64 0
		.amdhsa_float_denorm_mode_32 3
		.amdhsa_float_denorm_mode_16_64 3
		.amdhsa_dx10_clamp 1
		.amdhsa_ieee_mode 1
		.amdhsa_fp16_overflow 0
		.amdhsa_workgroup_processor_mode 1
		.amdhsa_memory_ordered 1
		.amdhsa_forward_progress 1
		.amdhsa_shared_vgpr_count 0
		.amdhsa_exception_fp_ieee_invalid_op 0
		.amdhsa_exception_fp_denorm_src 0
		.amdhsa_exception_fp_ieee_div_zero 0
		.amdhsa_exception_fp_ieee_overflow 0
		.amdhsa_exception_fp_ieee_underflow 0
		.amdhsa_exception_fp_ieee_inexact 0
		.amdhsa_exception_int_div_zero 0
	.end_amdhsa_kernel
	.section	.text._ZN12_GLOBAL__N_141elementwise_kernel_with_index_grid_strideIiZZZN2at6native17linspace_cuda_outERKN3c106ScalarES6_lRNS1_6TensorEENKUlvE_clEvENKUlvE_clEvEUllE_EEvT_T0_PN15function_traitsISD_E11result_typeE,"axG",@progbits,_ZN12_GLOBAL__N_141elementwise_kernel_with_index_grid_strideIiZZZN2at6native17linspace_cuda_outERKN3c106ScalarES6_lRNS1_6TensorEENKUlvE_clEvENKUlvE_clEvEUllE_EEvT_T0_PN15function_traitsISD_E11result_typeE,comdat
.Lfunc_end0:
	.size	_ZN12_GLOBAL__N_141elementwise_kernel_with_index_grid_strideIiZZZN2at6native17linspace_cuda_outERKN3c106ScalarES6_lRNS1_6TensorEENKUlvE_clEvENKUlvE_clEvEUllE_EEvT_T0_PN15function_traitsISD_E11result_typeE, .Lfunc_end0-_ZN12_GLOBAL__N_141elementwise_kernel_with_index_grid_strideIiZZZN2at6native17linspace_cuda_outERKN3c106ScalarES6_lRNS1_6TensorEENKUlvE_clEvENKUlvE_clEvEUllE_EEvT_T0_PN15function_traitsISD_E11result_typeE
                                        ; -- End function
	.set _ZN12_GLOBAL__N_141elementwise_kernel_with_index_grid_strideIiZZZN2at6native17linspace_cuda_outERKN3c106ScalarES6_lRNS1_6TensorEENKUlvE_clEvENKUlvE_clEvEUllE_EEvT_T0_PN15function_traitsISD_E11result_typeE.num_vgpr, 45
	.set _ZN12_GLOBAL__N_141elementwise_kernel_with_index_grid_strideIiZZZN2at6native17linspace_cuda_outERKN3c106ScalarES6_lRNS1_6TensorEENKUlvE_clEvENKUlvE_clEvEUllE_EEvT_T0_PN15function_traitsISD_E11result_typeE.num_agpr, 0
	.set _ZN12_GLOBAL__N_141elementwise_kernel_with_index_grid_strideIiZZZN2at6native17linspace_cuda_outERKN3c106ScalarES6_lRNS1_6TensorEENKUlvE_clEvENKUlvE_clEvEUllE_EEvT_T0_PN15function_traitsISD_E11result_typeE.numbered_sgpr, 39
	.set _ZN12_GLOBAL__N_141elementwise_kernel_with_index_grid_strideIiZZZN2at6native17linspace_cuda_outERKN3c106ScalarES6_lRNS1_6TensorEENKUlvE_clEvENKUlvE_clEvEUllE_EEvT_T0_PN15function_traitsISD_E11result_typeE.num_named_barrier, 0
	.set _ZN12_GLOBAL__N_141elementwise_kernel_with_index_grid_strideIiZZZN2at6native17linspace_cuda_outERKN3c106ScalarES6_lRNS1_6TensorEENKUlvE_clEvENKUlvE_clEvEUllE_EEvT_T0_PN15function_traitsISD_E11result_typeE.private_seg_size, 0
	.set _ZN12_GLOBAL__N_141elementwise_kernel_with_index_grid_strideIiZZZN2at6native17linspace_cuda_outERKN3c106ScalarES6_lRNS1_6TensorEENKUlvE_clEvENKUlvE_clEvEUllE_EEvT_T0_PN15function_traitsISD_E11result_typeE.uses_vcc, 1
	.set _ZN12_GLOBAL__N_141elementwise_kernel_with_index_grid_strideIiZZZN2at6native17linspace_cuda_outERKN3c106ScalarES6_lRNS1_6TensorEENKUlvE_clEvENKUlvE_clEvEUllE_EEvT_T0_PN15function_traitsISD_E11result_typeE.uses_flat_scratch, 0
	.set _ZN12_GLOBAL__N_141elementwise_kernel_with_index_grid_strideIiZZZN2at6native17linspace_cuda_outERKN3c106ScalarES6_lRNS1_6TensorEENKUlvE_clEvENKUlvE_clEvEUllE_EEvT_T0_PN15function_traitsISD_E11result_typeE.has_dyn_sized_stack, 0
	.set _ZN12_GLOBAL__N_141elementwise_kernel_with_index_grid_strideIiZZZN2at6native17linspace_cuda_outERKN3c106ScalarES6_lRNS1_6TensorEENKUlvE_clEvENKUlvE_clEvEUllE_EEvT_T0_PN15function_traitsISD_E11result_typeE.has_recursion, 0
	.set _ZN12_GLOBAL__N_141elementwise_kernel_with_index_grid_strideIiZZZN2at6native17linspace_cuda_outERKN3c106ScalarES6_lRNS1_6TensorEENKUlvE_clEvENKUlvE_clEvEUllE_EEvT_T0_PN15function_traitsISD_E11result_typeE.has_indirect_call, 0
	.section	.AMDGPU.csdata,"",@progbits
; Kernel info:
; codeLenInByte = 1412
; TotalNumSgprs: 41
; NumVgprs: 45
; ScratchSize: 0
; MemoryBound: 0
; FloatMode: 240
; IeeeMode: 1
; LDSByteSize: 0 bytes/workgroup (compile time only)
; SGPRBlocks: 0
; VGPRBlocks: 5
; NumSGPRsForWavesPerEU: 41
; NumVGPRsForWavesPerEU: 45
; Occupancy: 16
; WaveLimiterHint : 0
; COMPUTE_PGM_RSRC2:SCRATCH_EN: 0
; COMPUTE_PGM_RSRC2:USER_SGPR: 6
; COMPUTE_PGM_RSRC2:TRAP_HANDLER: 0
; COMPUTE_PGM_RSRC2:TGID_X_EN: 1
; COMPUTE_PGM_RSRC2:TGID_Y_EN: 0
; COMPUTE_PGM_RSRC2:TGID_Z_EN: 0
; COMPUTE_PGM_RSRC2:TIDIG_COMP_CNT: 0
	.section	.text._ZN12_GLOBAL__N_141elementwise_kernel_with_index_grid_strideIlZZZN2at6native17linspace_cuda_outERKN3c106ScalarES6_lRNS1_6TensorEENKUlvE_clEvENKUlvE_clEvEUllE_EEvT_T0_PN15function_traitsISD_E11result_typeE,"axG",@progbits,_ZN12_GLOBAL__N_141elementwise_kernel_with_index_grid_strideIlZZZN2at6native17linspace_cuda_outERKN3c106ScalarES6_lRNS1_6TensorEENKUlvE_clEvENKUlvE_clEvEUllE_EEvT_T0_PN15function_traitsISD_E11result_typeE,comdat
	.globl	_ZN12_GLOBAL__N_141elementwise_kernel_with_index_grid_strideIlZZZN2at6native17linspace_cuda_outERKN3c106ScalarES6_lRNS1_6TensorEENKUlvE_clEvENKUlvE_clEvEUllE_EEvT_T0_PN15function_traitsISD_E11result_typeE ; -- Begin function _ZN12_GLOBAL__N_141elementwise_kernel_with_index_grid_strideIlZZZN2at6native17linspace_cuda_outERKN3c106ScalarES6_lRNS1_6TensorEENKUlvE_clEvENKUlvE_clEvEUllE_EEvT_T0_PN15function_traitsISD_E11result_typeE
	.p2align	8
	.type	_ZN12_GLOBAL__N_141elementwise_kernel_with_index_grid_strideIlZZZN2at6native17linspace_cuda_outERKN3c106ScalarES6_lRNS1_6TensorEENKUlvE_clEvENKUlvE_clEvEUllE_EEvT_T0_PN15function_traitsISD_E11result_typeE,@function
_ZN12_GLOBAL__N_141elementwise_kernel_with_index_grid_strideIlZZZN2at6native17linspace_cuda_outERKN3c106ScalarES6_lRNS1_6TensorEENKUlvE_clEvENKUlvE_clEvEUllE_EEvT_T0_PN15function_traitsISD_E11result_typeE: ; @_ZN12_GLOBAL__N_141elementwise_kernel_with_index_grid_strideIlZZZN2at6native17linspace_cuda_outERKN3c106ScalarES6_lRNS1_6TensorEENKUlvE_clEvENKUlvE_clEvEUllE_EEvT_T0_PN15function_traitsISD_E11result_typeE
; %bb.0:
	s_clause 0x1
	s_load_dword s2, s[4:5], 0x3c
	s_load_dwordx2 s[12:13], s[4:5], 0x0
	s_add_u32 s0, s4, 48
	s_addc_u32 s1, s5, 0
	v_mov_b32_e32 v3, 0
	s_waitcnt lgkmcnt(0)
	s_and_b32 s31, s2, 0xffff
	s_mul_i32 s26, s31, s6
	s_mul_hi_u32 s7, s31, s6
	v_add_co_u32 v1, s2, s26, v0
	v_add_co_ci_u32_e64 v2, null, s7, 0, s2
	s_mov_b32 s2, exec_lo
	v_cmpx_gt_i64_e64 s[12:13], v[1:2]
	s_cbranch_execz .LBB1_16
; %bb.1:
	s_load_dword s2, s[0:1], 0x0
	s_waitcnt lgkmcnt(0)
	s_add_u32 s0, s6, s2
	s_addc_u32 s1, 0, 0
	s_mul_hi_u32 s3, s0, s31
	s_mul_i32 s1, s1, s31
	s_mul_i32 s27, s0, s31
	s_add_i32 s28, s3, s1
	v_add_co_u32 v6, s0, s27, v0
	v_add_co_ci_u32_e64 v7, null, s28, 0, s0
	s_load_dword s1, s[4:5], 0x8
	s_mul_hi_u32 s15, s31, s2
	s_mov_b32 s3, 0
	v_cmp_gt_i64_e32 vcc_lo, s[12:13], v[6:7]
	s_mul_i32 s14, s31, s2
	v_cndmask_b32_e64 v5, 0, 1, vcc_lo
	v_cndmask_b32_e64 v4, v7, s13, vcc_lo
	;; [unrolled: 1-line block ×3, first 2 shown]
	v_add_co_u32 v6, vcc_lo, v6, v5
	v_add_co_ci_u32_e64 v7, null, 0, v7, vcc_lo
	v_sub_co_u32 v6, vcc_lo, v8, v6
	v_sub_co_ci_u32_e64 v7, null, v4, v7, vcc_lo
	v_or_b32_e32 v4, s15, v7
	v_cmp_ne_u64_e32 vcc_lo, 0, v[3:4]
                                        ; implicit-def: $vgpr3_vgpr4
	s_and_saveexec_b32 s0, vcc_lo
	s_xor_b32 s8, exec_lo, s0
	s_cbranch_execz .LBB1_3
; %bb.2:
	v_cvt_f32_u32_e32 v3, s14
	v_cvt_f32_u32_e32 v4, s15
	s_sub_u32 s10, 0, s14
	s_subb_u32 s11, 0, s15
	v_fmamk_f32 v3, v4, 0x4f800000, v3
	v_rcp_f32_e32 v3, v3
	v_mul_f32_e32 v3, 0x5f7ffffc, v3
	v_mul_f32_e32 v4, 0x2f800000, v3
	v_trunc_f32_e32 v4, v4
	v_fmamk_f32 v3, v4, 0xcf800000, v3
	v_cvt_u32_f32_e32 v4, v4
	v_cvt_u32_f32_e32 v3, v3
	v_readfirstlane_b32 s0, v4
	v_readfirstlane_b32 s9, v3
	s_mul_i32 s16, s10, s0
	s_mul_hi_u32 s18, s10, s9
	s_mul_i32 s17, s11, s9
	s_add_i32 s16, s18, s16
	s_mul_i32 s19, s10, s9
	s_add_i32 s16, s16, s17
	s_mul_hi_u32 s18, s9, s19
	s_mul_i32 s21, s9, s16
	s_mul_hi_u32 s20, s0, s19
	s_mul_i32 s17, s0, s19
	s_mul_hi_u32 s19, s9, s16
	s_add_u32 s18, s18, s21
	s_addc_u32 s19, 0, s19
	s_mul_hi_u32 s22, s0, s16
	s_add_u32 s17, s18, s17
	s_mul_i32 s16, s0, s16
	s_addc_u32 s17, s19, s20
	s_addc_u32 s18, s22, 0
	s_add_u32 s16, s17, s16
	s_addc_u32 s17, 0, s18
	s_add_u32 s9, s9, s16
	s_cselect_b32 s16, -1, 0
	s_mul_hi_u32 s18, s10, s9
	s_cmp_lg_u32 s16, 0
	s_mul_i32 s16, s10, s9
	s_addc_u32 s0, s0, s17
	s_mul_i32 s11, s11, s9
	s_mul_i32 s10, s10, s0
	s_mul_hi_u32 s17, s9, s16
	s_add_i32 s10, s18, s10
	s_mul_hi_u32 s18, s0, s16
	s_add_i32 s10, s10, s11
	s_mul_i32 s11, s0, s16
	s_mul_i32 s20, s9, s10
	s_mul_hi_u32 s19, s9, s10
	s_add_u32 s17, s17, s20
	s_addc_u32 s19, 0, s19
	s_mul_hi_u32 s16, s0, s10
	s_add_u32 s11, s17, s11
	s_mul_i32 s10, s0, s10
	s_addc_u32 s11, s19, s18
	s_addc_u32 s16, s16, 0
	s_add_u32 s10, s11, s10
	s_addc_u32 s11, 0, s16
	s_add_u32 s9, s9, s10
	s_cselect_b32 s10, -1, 0
	v_mul_hi_u32 v12, v6, s9
	s_cmp_lg_u32 s10, 0
	v_mad_u64_u32 v[8:9], null, v7, s9, 0
	s_addc_u32 s0, s0, s11
	v_mad_u64_u32 v[3:4], null, v6, s0, 0
	v_mad_u64_u32 v[10:11], null, v7, s0, 0
	v_add_co_u32 v3, vcc_lo, v12, v3
	v_add_co_ci_u32_e64 v4, null, 0, v4, vcc_lo
	v_add_co_u32 v3, vcc_lo, v3, v8
	v_add_co_ci_u32_e32 v3, vcc_lo, v4, v9, vcc_lo
	v_add_co_ci_u32_e32 v4, vcc_lo, 0, v11, vcc_lo
	v_add_co_u32 v8, vcc_lo, v3, v10
	v_add_co_ci_u32_e64 v9, null, 0, v4, vcc_lo
	v_mul_lo_u32 v10, s15, v8
	v_mad_u64_u32 v[3:4], null, s14, v8, 0
	v_mul_lo_u32 v11, s14, v9
	v_sub_co_u32 v3, vcc_lo, v6, v3
	v_add3_u32 v4, v4, v11, v10
	v_sub_nc_u32_e32 v10, v7, v4
	v_sub_co_ci_u32_e64 v4, null, v7, v4, vcc_lo
	v_subrev_co_ci_u32_e64 v6, null, s15, v10, vcc_lo
	v_add_co_u32 v10, s0, v8, 2
	v_add_co_ci_u32_e64 v11, null, 0, v9, s0
	v_sub_co_u32 v12, s0, v3, s14
	v_subrev_co_ci_u32_e64 v6, null, 0, v6, s0
	v_cmp_eq_u32_e64 s0, s15, v4
	v_cmp_le_u32_e32 vcc_lo, s14, v12
	v_cndmask_b32_e64 v7, 0, -1, vcc_lo
	v_cmp_le_u32_e32 vcc_lo, s15, v6
	v_cndmask_b32_e64 v12, 0, -1, vcc_lo
	;; [unrolled: 2-line block ×4, first 2 shown]
	v_cmp_eq_u32_e32 vcc_lo, s15, v6
	v_cndmask_b32_e64 v3, v13, v3, s0
	v_cndmask_b32_e32 v6, v12, v7, vcc_lo
	v_add_co_u32 v7, vcc_lo, v8, 1
	v_add_co_ci_u32_e64 v12, null, 0, v9, vcc_lo
	v_cmp_ne_u32_e32 vcc_lo, 0, v6
	v_cndmask_b32_e32 v4, v12, v11, vcc_lo
	v_cndmask_b32_e32 v6, v7, v10, vcc_lo
	v_cmp_ne_u32_e32 vcc_lo, 0, v3
	v_cndmask_b32_e32 v4, v9, v4, vcc_lo
	v_cndmask_b32_e32 v3, v8, v6, vcc_lo
                                        ; implicit-def: $vgpr6
.LBB1_3:
	s_or_saveexec_b32 s18, s8
	s_clause 0x1
	s_load_dwordx2 s[16:17], s[4:5], 0x10
	s_load_dwordx4 s[8:11], s[4:5], 0x20
	s_waitcnt lgkmcnt(0)
	s_bfe_u32 s0, s1, 0x80008
	s_xor_b32 exec_lo, exec_lo, s18
	s_cbranch_execz .LBB1_5
; %bb.4:
	v_cvt_f32_u32_e32 v3, s14
	s_sub_i32 s19, 0, s14
	v_rcp_iflag_f32_e32 v3, v3
	v_mul_f32_e32 v3, 0x4f7ffffe, v3
	v_cvt_u32_f32_e32 v3, v3
	v_mul_lo_u32 v4, s19, v3
	v_mul_hi_u32 v4, v3, v4
	v_add_nc_u32_e32 v3, v3, v4
	v_mul_hi_u32 v3, v6, v3
	v_mul_lo_u32 v4, v3, s14
	v_sub_nc_u32_e32 v4, v6, v4
	v_add_nc_u32_e32 v6, 1, v3
	v_subrev_nc_u32_e32 v7, s14, v4
	v_cmp_le_u32_e32 vcc_lo, s14, v4
	v_cndmask_b32_e32 v4, v4, v7, vcc_lo
	v_cndmask_b32_e32 v3, v3, v6, vcc_lo
	v_cmp_le_u32_e32 vcc_lo, s14, v4
	v_add_nc_u32_e32 v6, 1, v3
	v_mov_b32_e32 v4, 0
	v_cndmask_b32_e32 v3, v3, v6, vcc_lo
.LBB1_5:
	s_or_b32 exec_lo, exec_lo, s18
	s_load_dword s29, s[4:5], 0x18
	v_add_co_u32 v3, vcc_lo, v3, v5
	v_add_co_ci_u32_e64 v4, null, 0, v4, vcc_lo
	v_cvt_f32_ubyte0_e32 v17, s0
	v_add_co_u32 v11, vcc_lo, v3, 1
	v_add_co_ci_u32_e64 v12, null, 0, v4, vcc_lo
	v_cvt_f32_ubyte0_e32 v18, s1
	s_mov_b32 s0, -1
	s_mov_b32 s30, exec_lo
	v_cmpx_lt_u64_e32 3, v[11:12]
	s_cbranch_execz .LBB1_9
; %bb.6:
	v_mad_u64_u32 v[7:8], null, s14, 3, v[1:2]
	s_mul_i32 s0, s2, 3
	v_mad_u64_u32 v[5:6], null, s14, 2, v[1:2]
	v_mad_u64_u32 v[3:4], null, s14, 1, v[1:2]
	s_lshl_b64 s[24:25], s[14:15], 2
	s_mul_hi_u32 s1, s2, 3
	v_mad_u64_u32 v[8:9], null, s15, 3, v[8:9]
	s_add_u32 s49, s0, s6
	s_addc_u32 s0, s1, 0
	v_mov_b32_e32 v14, v12
	s_mul_i32 s0, s0, s31
	s_mul_hi_u32 s1, s49, s31
	v_and_b32_e32 v13, -4, v11
	s_add_i32 s48, s1, s0
	s_lshl_b64 s[0:1], s[2:3], 1
	v_lshl_add_u32 v6, s15, 1, v6
	v_add_nc_u32_e32 v4, s15, v4
	s_add_u32 s0, s0, s6
	v_add_co_u32 v0, s2, s10, v0
	s_addc_u32 s1, s1, 0
	v_mov_b32_e32 v16, v14
	v_mov_b32_e32 v10, v8
	v_add_co_ci_u32_e64 v19, null, s11, 0, s2
	v_mov_b32_e32 v15, v13
	v_mov_b32_e32 v9, v7
	;; [unrolled: 1-line block ×8, first 2 shown]
	s_mul_i32 s1, s1, s31
	s_mul_hi_u32 s2, s0, s31
	s_mov_b32 s4, s8
	s_mov_b32 s5, s9
	;; [unrolled: 1-line block ×14, first 2 shown]
	s_waitcnt lgkmcnt(0)
	s_mov_b32 s39, s29
	s_mov_b32 s40, s29
	s_mov_b32 s41, s29
	s_mov_b32 s42, s24
	s_mov_b32 s43, s25
	s_mov_b32 s44, s24
	s_mov_b32 s45, s25
	s_mov_b32 s46, s24
	s_mov_b32 s47, s25
	s_mul_i32 s49, s49, s31
	s_add_i32 s6, s2, s1
	s_mul_i32 s50, s0, s31
	s_mov_b32 s31, 0
.LBB1_7:                                ; =>This Inner Loop Header: Depth=1
	v_add_co_u32 v20, vcc_lo, v0, s26
	v_add_co_ci_u32_e64 v21, null, s7, v19, vcc_lo
	v_add_co_u32 v22, vcc_lo, v0, s27
	v_add_co_ci_u32_e64 v23, null, s28, v19, vcc_lo
	;; [unrolled: 2-line block ×3, first 2 shown]
	v_add_co_u32 v26, vcc_lo, v0, s49
	v_not_b32_e32 v28, v9
	v_add_co_ci_u32_e64 v27, null, s48, v19, vcc_lo
	v_add_co_u32 v15, vcc_lo, v15, -4
	v_not_b32_e32 v30, v7
	v_not_b32_e32 v29, v10
	v_add_co_ci_u32_e64 v16, null, -1, v16, vcc_lo
	v_add_co_u32 v0, vcc_lo, v0, s24
	v_not_b32_e32 v32, v5
	v_not_b32_e32 v31, v8
	v_add_co_ci_u32_e64 v19, null, s25, v19, vcc_lo
	v_add_co_u32 v28, vcc_lo, s37, v28
	v_not_b32_e32 v34, v3
	v_not_b32_e32 v33, v6
	v_add_co_ci_u32_e64 v29, null, s38, v29, vcc_lo
	v_add_co_u32 v30, vcc_lo, s35, v30
	v_not_b32_e32 v35, v4
	v_add_co_ci_u32_e64 v31, null, s36, v31, vcc_lo
	v_add_co_u32 v32, vcc_lo, s33, v32
	v_add_co_ci_u32_e64 v33, null, s34, v33, vcc_lo
	v_add_co_u32 v34, vcc_lo, s16, v34
	v_ffbh_u32_e32 v36, v4
	v_ffbh_u32_e32 v37, v6
	;; [unrolled: 1-line block ×4, first 2 shown]
	v_add_co_ci_u32_e64 v35, null, s17, v35, vcc_lo
	v_min_u32_e32 v40, 32, v36
	v_min_u32_e32 v41, 32, v37
	;; [unrolled: 1-line block ×4, first 2 shown]
	v_xor_b32_e32 v45, v34, v35
	v_xor_b32_e32 v47, v32, v33
	;; [unrolled: 1-line block ×4, first 2 shown]
	v_lshlrev_b64 v[36:37], v40, v[3:4]
	v_sub_nc_u32_e32 v53, 32, v40
	v_lshlrev_b64 v[38:39], v41, v[5:6]
	v_sub_nc_u32_e32 v54, 32, v41
	;; [unrolled: 2-line block ×3, first 2 shown]
	v_lshlrev_b64 v[42:43], v44, v[9:10]
	v_ffbh_i32_e32 v46, v35
	v_ffbh_i32_e32 v48, v33
	;; [unrolled: 1-line block ×4, first 2 shown]
	v_ashrrev_i32_e32 v45, 31, v45
	v_ashrrev_i32_e32 v47, 31, v47
	;; [unrolled: 1-line block ×4, first 2 shown]
	v_add_nc_u32_e32 v46, -1, v46
	v_add_nc_u32_e32 v48, -1, v48
	;; [unrolled: 1-line block ×4, first 2 shown]
	v_min_u32_e32 v36, 1, v36
	v_min_u32_e32 v38, 1, v38
	;; [unrolled: 1-line block ×4, first 2 shown]
	v_add_nc_u32_e32 v45, 32, v45
	v_add_nc_u32_e32 v47, 32, v47
	;; [unrolled: 1-line block ×4, first 2 shown]
	v_or_b32_e32 v36, v37, v36
	v_or_b32_e32 v37, v39, v38
	;; [unrolled: 1-line block ×4, first 2 shown]
	v_min_u32_e32 v40, v46, v45
	v_min_u32_e32 v41, v48, v47
	;; [unrolled: 1-line block ×4, first 2 shown]
	v_cvt_f32_u32_e32 v36, v36
	v_lshlrev_b64 v[34:35], v40, v[34:35]
	v_lshlrev_b64 v[32:33], v41, v[32:33]
	;; [unrolled: 1-line block ×4, first 2 shown]
	v_cvt_f32_u32_e32 v37, v37
	v_sub_nc_u32_e32 v40, 32, v40
	v_min_u32_e32 v34, 1, v34
	v_min_u32_e32 v32, 1, v32
	;; [unrolled: 1-line block ×4, first 2 shown]
	v_sub_nc_u32_e32 v41, 32, v41
	v_sub_nc_u32_e32 v44, 32, v44
	v_cvt_f32_u32_e32 v38, v38
	v_cvt_f32_u32_e32 v39, v39
	v_or_b32_e32 v28, v29, v28
	v_or_b32_e32 v29, v31, v30
	;; [unrolled: 1-line block ×4, first 2 shown]
	v_sub_nc_u32_e32 v42, 32, v42
	v_sub_nc_u32_e32 v43, 32, v43
	v_ldexp_f32 v36, v36, v53
	v_cvt_f32_i32_e32 v30, v30
	v_cvt_f32_i32_e32 v31, v31
	v_ldexp_f32 v37, v37, v54
	v_cvt_f32_i32_e32 v28, v28
	v_cvt_f32_i32_e32 v29, v29
	v_ldexp_f32 v30, v30, v40
	v_ldexp_f32 v31, v31, v41
	v_cmp_eq_u64_e32 vcc_lo, 0, v[15:16]
	v_cmp_gt_i64_e64 s1, s[18:19], v[5:6]
	v_cmp_gt_i64_e64 s2, s[4:5], v[3:4]
	v_ldexp_f32 v38, v38, v55
	v_ldexp_f32 v39, v39, v44
	v_fma_f32 v37, s39, v37, v18
	v_fma_f32 v36, s29, v36, v18
	v_ldexp_f32 v28, v28, v43
	v_ldexp_f32 v29, v29, v42
	v_fma_f32 v31, -s39, v31, v17
	v_fma_f32 v30, -s29, v30, v17
	s_or_b32 s31, vcc_lo, s31
	v_cmp_gt_i64_e32 vcc_lo, s[22:23], v[9:10]
	v_cmp_gt_i64_e64 s0, s[20:21], v[7:8]
	v_fma_f32 v39, s41, v39, v18
	v_fma_f32 v38, s40, v38, v18
	v_fma_f32 v28, -s41, v28, v17
	v_fma_f32 v29, -s40, v29, v17
	v_cndmask_b32_e64 v31, v31, v37, s1
	v_cndmask_b32_e64 v30, v30, v36, s2
	v_add_co_u32 v9, s3, v9, s46
	v_cndmask_b32_e64 v29, v29, v38, s0
	v_cndmask_b32_e32 v28, v28, v39, vcc_lo
	v_cvt_i32_f32_sdwa v31, v31 dst_sel:BYTE_1 dst_unused:UNUSED_PAD src0_sel:DWORD
	v_cvt_i32_f32_e32 v30, v30
	v_add_co_ci_u32_e64 v10, null, s47, v10, s3
	v_cvt_i32_f32_sdwa v28, v28 dst_sel:BYTE_1 dst_unused:UNUSED_PAD src0_sel:DWORD
	v_cvt_i32_f32_e32 v29, v29
	v_or_b32_e32 v30, v30, v31
	v_add_co_u32 v7, s3, v7, s44
	v_add_co_ci_u32_e64 v8, null, s45, v8, s3
	v_or_b32_e32 v28, v29, v28
	v_and_b32_e32 v29, 0xffff, v30
	v_add_co_u32 v5, s3, v5, s42
	v_add_co_u32 v3, vcc_lo, v3, s24
	v_add_co_ci_u32_e64 v6, null, s43, v6, s3
	v_add_co_ci_u32_e64 v4, null, s25, v4, vcc_lo
	v_lshrrev_b32_e32 v31, 8, v29
	v_lshrrev_b32_e32 v30, 8, v28
	global_store_byte v[20:21], v29, off
	global_store_byte v[22:23], v31, off
	;; [unrolled: 1-line block ×4, first 2 shown]
	s_andn2_b32 exec_lo, exec_lo, s31
	s_cbranch_execnz .LBB1_7
; %bb.8:
	s_or_b32 exec_lo, exec_lo, s31
	v_mad_u64_u32 v[1:2], null, v13, s14, v[1:2]
	v_mul_lo_u32 v0, v13, s15
	v_mul_lo_u32 v3, v14, s14
	v_cmp_ne_u64_e32 vcc_lo, v[11:12], v[13:14]
	s_orn2_b32 s0, vcc_lo, exec_lo
	v_add3_u32 v2, v3, v2, v0
.LBB1_9:
	s_or_b32 exec_lo, exec_lo, s30
	s_and_b32 exec_lo, exec_lo, s0
	s_cbranch_execz .LBB1_16
; %bb.10:
	v_not_b32_e32 v0, v1
	v_not_b32_e32 v4, v2
	s_mov_b32 s1, 0
	v_add_co_u32 v3, vcc_lo, v0, s16
	v_add_co_ci_u32_e64 v4, null, s17, v4, vcc_lo
	s_branch .LBB1_12
.LBB1_11:                               ;   in Loop: Header=BB1_12 Depth=1
	s_or_b32 exec_lo, exec_lo, s0
	v_add_co_u32 v5, vcc_lo, s10, v1
	v_add_co_ci_u32_e64 v6, null, s11, v2, vcc_lo
	v_add_co_u32 v1, vcc_lo, v1, s14
	v_add_co_ci_u32_e64 v2, null, s15, v2, vcc_lo
	v_sub_co_u32 v3, s0, v3, s14
	v_cvt_i32_f32_e32 v0, v0
	v_cmp_le_i64_e32 vcc_lo, s[12:13], v[1:2]
	v_subrev_co_ci_u32_e64 v4, null, s15, v4, s0
	global_store_byte v[5:6], v0, off
	s_or_b32 s1, vcc_lo, s1
	s_andn2_b32 exec_lo, exec_lo, s1
	s_cbranch_execz .LBB1_16
.LBB1_12:                               ; =>This Inner Loop Header: Depth=1
	s_mov_b32 s0, exec_lo
                                        ; implicit-def: $vgpr0
	v_cmpx_le_i64_e64 s[8:9], v[1:2]
	s_xor_b32 s0, exec_lo, s0
	s_cbranch_execz .LBB1_14
; %bb.13:                               ;   in Loop: Header=BB1_12 Depth=1
	v_xor_b32_e32 v0, v3, v4
	v_ffbh_i32_e32 v5, v4
	v_ashrrev_i32_e32 v0, 31, v0
	v_add_nc_u32_e32 v5, -1, v5
	v_add_nc_u32_e32 v0, 32, v0
	v_min_u32_e32 v0, v5, v0
	v_lshlrev_b64 v[5:6], v0, v[3:4]
	v_sub_nc_u32_e32 v0, 32, v0
	v_min_u32_e32 v5, 1, v5
	v_or_b32_e32 v5, v6, v5
	v_cvt_f32_i32_e32 v5, v5
	v_ldexp_f32 v0, v5, v0
	s_waitcnt lgkmcnt(0)
	v_fma_f32 v0, -s29, v0, v17
.LBB1_14:                               ;   in Loop: Header=BB1_12 Depth=1
	s_andn2_saveexec_b32 s0, s0
	s_cbranch_execz .LBB1_11
; %bb.15:                               ;   in Loop: Header=BB1_12 Depth=1
	v_ffbh_u32_e32 v0, v2
	v_min_u32_e32 v0, 32, v0
	v_lshlrev_b64 v[5:6], v0, v[1:2]
	v_sub_nc_u32_e32 v0, 32, v0
	v_min_u32_e32 v5, 1, v5
	v_or_b32_e32 v5, v6, v5
	v_cvt_f32_u32_e32 v5, v5
	v_ldexp_f32 v0, v5, v0
	s_waitcnt lgkmcnt(0)
	v_fma_f32 v0, s29, v0, v18
	s_branch .LBB1_11
.LBB1_16:
	s_endpgm
	.section	.rodata,"a",@progbits
	.p2align	6, 0x0
	.amdhsa_kernel _ZN12_GLOBAL__N_141elementwise_kernel_with_index_grid_strideIlZZZN2at6native17linspace_cuda_outERKN3c106ScalarES6_lRNS1_6TensorEENKUlvE_clEvENKUlvE_clEvEUllE_EEvT_T0_PN15function_traitsISD_E11result_typeE
		.amdhsa_group_segment_fixed_size 0
		.amdhsa_private_segment_fixed_size 0
		.amdhsa_kernarg_size 304
		.amdhsa_user_sgpr_count 6
		.amdhsa_user_sgpr_private_segment_buffer 1
		.amdhsa_user_sgpr_dispatch_ptr 0
		.amdhsa_user_sgpr_queue_ptr 0
		.amdhsa_user_sgpr_kernarg_segment_ptr 1
		.amdhsa_user_sgpr_dispatch_id 0
		.amdhsa_user_sgpr_flat_scratch_init 0
		.amdhsa_user_sgpr_private_segment_size 0
		.amdhsa_wavefront_size32 1
		.amdhsa_uses_dynamic_stack 0
		.amdhsa_system_sgpr_private_segment_wavefront_offset 0
		.amdhsa_system_sgpr_workgroup_id_x 1
		.amdhsa_system_sgpr_workgroup_id_y 0
		.amdhsa_system_sgpr_workgroup_id_z 0
		.amdhsa_system_sgpr_workgroup_info 0
		.amdhsa_system_vgpr_workitem_id 0
		.amdhsa_next_free_vgpr 56
		.amdhsa_next_free_sgpr 51
		.amdhsa_reserve_vcc 1
		.amdhsa_reserve_flat_scratch 0
		.amdhsa_float_round_mode_32 0
		.amdhsa_float_round_mode_16_64 0
		.amdhsa_float_denorm_mode_32 3
		.amdhsa_float_denorm_mode_16_64 3
		.amdhsa_dx10_clamp 1
		.amdhsa_ieee_mode 1
		.amdhsa_fp16_overflow 0
		.amdhsa_workgroup_processor_mode 1
		.amdhsa_memory_ordered 1
		.amdhsa_forward_progress 1
		.amdhsa_shared_vgpr_count 0
		.amdhsa_exception_fp_ieee_invalid_op 0
		.amdhsa_exception_fp_denorm_src 0
		.amdhsa_exception_fp_ieee_div_zero 0
		.amdhsa_exception_fp_ieee_overflow 0
		.amdhsa_exception_fp_ieee_underflow 0
		.amdhsa_exception_fp_ieee_inexact 0
		.amdhsa_exception_int_div_zero 0
	.end_amdhsa_kernel
	.section	.text._ZN12_GLOBAL__N_141elementwise_kernel_with_index_grid_strideIlZZZN2at6native17linspace_cuda_outERKN3c106ScalarES6_lRNS1_6TensorEENKUlvE_clEvENKUlvE_clEvEUllE_EEvT_T0_PN15function_traitsISD_E11result_typeE,"axG",@progbits,_ZN12_GLOBAL__N_141elementwise_kernel_with_index_grid_strideIlZZZN2at6native17linspace_cuda_outERKN3c106ScalarES6_lRNS1_6TensorEENKUlvE_clEvENKUlvE_clEvEUllE_EEvT_T0_PN15function_traitsISD_E11result_typeE,comdat
.Lfunc_end1:
	.size	_ZN12_GLOBAL__N_141elementwise_kernel_with_index_grid_strideIlZZZN2at6native17linspace_cuda_outERKN3c106ScalarES6_lRNS1_6TensorEENKUlvE_clEvENKUlvE_clEvEUllE_EEvT_T0_PN15function_traitsISD_E11result_typeE, .Lfunc_end1-_ZN12_GLOBAL__N_141elementwise_kernel_with_index_grid_strideIlZZZN2at6native17linspace_cuda_outERKN3c106ScalarES6_lRNS1_6TensorEENKUlvE_clEvENKUlvE_clEvEUllE_EEvT_T0_PN15function_traitsISD_E11result_typeE
                                        ; -- End function
	.set _ZN12_GLOBAL__N_141elementwise_kernel_with_index_grid_strideIlZZZN2at6native17linspace_cuda_outERKN3c106ScalarES6_lRNS1_6TensorEENKUlvE_clEvENKUlvE_clEvEUllE_EEvT_T0_PN15function_traitsISD_E11result_typeE.num_vgpr, 56
	.set _ZN12_GLOBAL__N_141elementwise_kernel_with_index_grid_strideIlZZZN2at6native17linspace_cuda_outERKN3c106ScalarES6_lRNS1_6TensorEENKUlvE_clEvENKUlvE_clEvEUllE_EEvT_T0_PN15function_traitsISD_E11result_typeE.num_agpr, 0
	.set _ZN12_GLOBAL__N_141elementwise_kernel_with_index_grid_strideIlZZZN2at6native17linspace_cuda_outERKN3c106ScalarES6_lRNS1_6TensorEENKUlvE_clEvENKUlvE_clEvEUllE_EEvT_T0_PN15function_traitsISD_E11result_typeE.numbered_sgpr, 51
	.set _ZN12_GLOBAL__N_141elementwise_kernel_with_index_grid_strideIlZZZN2at6native17linspace_cuda_outERKN3c106ScalarES6_lRNS1_6TensorEENKUlvE_clEvENKUlvE_clEvEUllE_EEvT_T0_PN15function_traitsISD_E11result_typeE.num_named_barrier, 0
	.set _ZN12_GLOBAL__N_141elementwise_kernel_with_index_grid_strideIlZZZN2at6native17linspace_cuda_outERKN3c106ScalarES6_lRNS1_6TensorEENKUlvE_clEvENKUlvE_clEvEUllE_EEvT_T0_PN15function_traitsISD_E11result_typeE.private_seg_size, 0
	.set _ZN12_GLOBAL__N_141elementwise_kernel_with_index_grid_strideIlZZZN2at6native17linspace_cuda_outERKN3c106ScalarES6_lRNS1_6TensorEENKUlvE_clEvENKUlvE_clEvEUllE_EEvT_T0_PN15function_traitsISD_E11result_typeE.uses_vcc, 1
	.set _ZN12_GLOBAL__N_141elementwise_kernel_with_index_grid_strideIlZZZN2at6native17linspace_cuda_outERKN3c106ScalarES6_lRNS1_6TensorEENKUlvE_clEvENKUlvE_clEvEUllE_EEvT_T0_PN15function_traitsISD_E11result_typeE.uses_flat_scratch, 0
	.set _ZN12_GLOBAL__N_141elementwise_kernel_with_index_grid_strideIlZZZN2at6native17linspace_cuda_outERKN3c106ScalarES6_lRNS1_6TensorEENKUlvE_clEvENKUlvE_clEvEUllE_EEvT_T0_PN15function_traitsISD_E11result_typeE.has_dyn_sized_stack, 0
	.set _ZN12_GLOBAL__N_141elementwise_kernel_with_index_grid_strideIlZZZN2at6native17linspace_cuda_outERKN3c106ScalarES6_lRNS1_6TensorEENKUlvE_clEvENKUlvE_clEvEUllE_EEvT_T0_PN15function_traitsISD_E11result_typeE.has_recursion, 0
	.set _ZN12_GLOBAL__N_141elementwise_kernel_with_index_grid_strideIlZZZN2at6native17linspace_cuda_outERKN3c106ScalarES6_lRNS1_6TensorEENKUlvE_clEvENKUlvE_clEvEUllE_EEvT_T0_PN15function_traitsISD_E11result_typeE.has_indirect_call, 0
	.section	.AMDGPU.csdata,"",@progbits
; Kernel info:
; codeLenInByte = 2448
; TotalNumSgprs: 53
; NumVgprs: 56
; ScratchSize: 0
; MemoryBound: 0
; FloatMode: 240
; IeeeMode: 1
; LDSByteSize: 0 bytes/workgroup (compile time only)
; SGPRBlocks: 0
; VGPRBlocks: 6
; NumSGPRsForWavesPerEU: 53
; NumVGPRsForWavesPerEU: 56
; Occupancy: 16
; WaveLimiterHint : 0
; COMPUTE_PGM_RSRC2:SCRATCH_EN: 0
; COMPUTE_PGM_RSRC2:USER_SGPR: 6
; COMPUTE_PGM_RSRC2:TRAP_HANDLER: 0
; COMPUTE_PGM_RSRC2:TGID_X_EN: 1
; COMPUTE_PGM_RSRC2:TGID_Y_EN: 0
; COMPUTE_PGM_RSRC2:TGID_Z_EN: 0
; COMPUTE_PGM_RSRC2:TIDIG_COMP_CNT: 0
	.section	.text._ZN12_GLOBAL__N_141elementwise_kernel_with_index_grid_strideIiZZZN2at6native17linspace_cuda_outERKN3c106ScalarES6_lRNS1_6TensorEENKUlvE_clEvENKUlvE0_clEvEUllE_EEvT_T0_PN15function_traitsISD_E11result_typeE,"axG",@progbits,_ZN12_GLOBAL__N_141elementwise_kernel_with_index_grid_strideIiZZZN2at6native17linspace_cuda_outERKN3c106ScalarES6_lRNS1_6TensorEENKUlvE_clEvENKUlvE0_clEvEUllE_EEvT_T0_PN15function_traitsISD_E11result_typeE,comdat
	.globl	_ZN12_GLOBAL__N_141elementwise_kernel_with_index_grid_strideIiZZZN2at6native17linspace_cuda_outERKN3c106ScalarES6_lRNS1_6TensorEENKUlvE_clEvENKUlvE0_clEvEUllE_EEvT_T0_PN15function_traitsISD_E11result_typeE ; -- Begin function _ZN12_GLOBAL__N_141elementwise_kernel_with_index_grid_strideIiZZZN2at6native17linspace_cuda_outERKN3c106ScalarES6_lRNS1_6TensorEENKUlvE_clEvENKUlvE0_clEvEUllE_EEvT_T0_PN15function_traitsISD_E11result_typeE
	.p2align	8
	.type	_ZN12_GLOBAL__N_141elementwise_kernel_with_index_grid_strideIiZZZN2at6native17linspace_cuda_outERKN3c106ScalarES6_lRNS1_6TensorEENKUlvE_clEvENKUlvE0_clEvEUllE_EEvT_T0_PN15function_traitsISD_E11result_typeE,@function
_ZN12_GLOBAL__N_141elementwise_kernel_with_index_grid_strideIiZZZN2at6native17linspace_cuda_outERKN3c106ScalarES6_lRNS1_6TensorEENKUlvE_clEvENKUlvE0_clEvEUllE_EEvT_T0_PN15function_traitsISD_E11result_typeE: ; @_ZN12_GLOBAL__N_141elementwise_kernel_with_index_grid_strideIiZZZN2at6native17linspace_cuda_outERKN3c106ScalarES6_lRNS1_6TensorEENKUlvE_clEvENKUlvE0_clEvEUllE_EEvT_T0_PN15function_traitsISD_E11result_typeE
; %bb.0:
	s_clause 0x1
	s_load_dword s2, s[4:5], 0x3c
	s_load_dword s20, s[4:5], 0x0
	s_add_u32 s0, s4, 48
	s_addc_u32 s1, s5, 0
	s_mov_b32 s3, exec_lo
	s_waitcnt lgkmcnt(0)
	s_and_b32 s2, s2, 0xffff
	v_mad_u64_u32 v[1:2], null, s6, s2, v[0:1]
	v_cmpx_gt_i32_e64 s20, v1
	s_cbranch_execz .LBB2_12
; %bb.1:
	s_load_dword s0, s[0:1], 0x0
	s_mov_b32 s24, 0
	s_mov_b32 s23, exec_lo
	s_waitcnt lgkmcnt(0)
	s_mul_i32 s21, s0, s2
	s_add_i32 s0, s6, s0
	v_cvt_f32_u32_e32 v2, s21
	s_sub_i32 s1, 0, s21
	s_mul_i32 s0, s0, s2
	s_clause 0x2
	s_load_dwordx2 s[6:7], s[4:5], 0x10
	s_load_dword s22, s[4:5], 0x18
	s_load_dwordx4 s[8:11], s[4:5], 0x20
	v_add_nc_u32_e32 v4, s0, v0
	v_rcp_iflag_f32_e32 v2, v2
	v_cmp_gt_i32_e32 vcc_lo, s20, v4
	v_max_i32_e32 v5, s20, v4
	v_add_co_ci_u32_e64 v0, null, s0, v0, vcc_lo
	v_mul_f32_e32 v2, 0x4f7ffffe, v2
	v_sub_nc_u32_e32 v0, v5, v0
	v_cvt_u32_f32_e32 v2, v2
	v_mul_lo_u32 v3, s1, v2
	s_load_dword s1, s[4:5], 0x8
	v_mul_hi_u32 v3, v2, v3
	v_add_nc_u32_e32 v2, v2, v3
	v_mul_hi_u32 v2, v0, v2
	v_mul_lo_u32 v3, v2, s21
	v_sub_nc_u32_e32 v0, v0, v3
	v_add_nc_u32_e32 v3, 1, v2
	v_subrev_nc_u32_e32 v4, s21, v0
	v_cmp_le_u32_e64 s0, s21, v0
	v_cndmask_b32_e64 v2, v2, v3, s0
	v_cndmask_b32_e64 v0, v0, v4, s0
	v_add_nc_u32_e32 v3, 1, v2
	v_cmp_le_u32_e64 s0, s21, v0
	v_cndmask_b32_e64 v0, v2, v3, s0
	s_waitcnt lgkmcnt(0)
	s_and_b32 s0, s1, 0xffff
	s_bfe_i32 s1, s1, 0x80000
	s_sext_i32_i16 s0, s0
	s_sext_i32_i16 s1, s1
	s_ashr_i32 s0, s0, 8
	v_add_co_ci_u32_e64 v7, null, 1, v0, vcc_lo
	v_cvt_f32_i32_e32 v0, s0
	v_cvt_f32_i32_e32 v6, s1
	s_mov_b32 s0, -1
	v_cmpx_lt_u32_e32 3, v7
	s_cbranch_execz .LBB2_5
; %bb.2:
	v_add_nc_u32_e32 v2, s21, v1
	v_and_b32_e32 v8, -4, v7
	v_lshl_add_u32 v3, s21, 1, v1
	s_lshl_b32 s35, s21, 2
	s_mov_b32 s12, s8
	v_mad_u64_u32 v[4:5], null, s21, 3, v[1:2]
	v_mov_b32_e32 v9, v8
	s_mov_b32 s13, s9
	s_mov_b32 s14, s8
	;; [unrolled: 1-line block ×5, first 2 shown]
	v_mov_b32_e32 v5, v4
	v_mov_b32_e32 v4, v3
	;; [unrolled: 1-line block ×4, first 2 shown]
	s_mov_b32 s18, s8
	s_mov_b32 s19, s9
	;; [unrolled: 1-line block ×14, first 2 shown]
.LBB2_3:                                ; =>This Inner Loop Header: Depth=1
	v_not_b32_e32 v19, v4
	v_not_b32_e32 v21, v3
	;; [unrolled: 1-line block ×3, first 2 shown]
	v_ashrrev_i32_e32 v11, 31, v2
	v_not_b32_e32 v26, v5
	v_cvt_f32_i32_e32 v28, v2
	v_cvt_f32_i32_e32 v30, v3
	;; [unrolled: 1-line block ×3, first 2 shown]
	v_ashrrev_i32_e32 v33, 31, v23
	v_ashrrev_i32_e32 v34, 31, v21
	;; [unrolled: 1-line block ×3, first 2 shown]
	v_add_co_u32 v18, vcc_lo, s10, v2
	v_add_co_u32 v25, s3, s27, v19
	v_add_co_u32 v27, s4, s25, v21
	;; [unrolled: 1-line block ×3, first 2 shown]
	v_ashrrev_i32_e32 v36, 31, v26
	v_fma_f32 v38, s33, v31, v6
	v_fma_f32 v39, s31, v30, v6
	;; [unrolled: 1-line block ×3, first 2 shown]
	v_add_co_ci_u32_e64 v19, null, s11, v11, vcc_lo
	v_add_co_u32 v31, vcc_lo, s29, v26
	v_add_co_ci_u32_e64 v30, null, s7, v33, s5
	v_add_co_ci_u32_e64 v28, null, s26, v34, s4
	;; [unrolled: 1-line block ×3, first 2 shown]
	v_cvt_f32_i32_e32 v32, v5
	v_xor_b32_e32 v33, v29, v30
	v_xor_b32_e32 v35, v27, v28
	;; [unrolled: 1-line block ×3, first 2 shown]
	v_ffbh_i32_e32 v34, v30
	v_fma_f32 v37, s34, v32, v6
	v_add_co_ci_u32_e64 v32, null, s30, v36, vcc_lo
	v_ffbh_i32_e32 v36, v28
	v_ffbh_i32_e32 v42, v26
	v_ashrrev_i32_e32 v33, 31, v33
	v_ashrrev_i32_e32 v35, 31, v35
	;; [unrolled: 1-line block ×3, first 2 shown]
	v_xor_b32_e32 v43, v31, v32
	v_add_nc_u32_e32 v34, -1, v34
	v_add_nc_u32_e32 v36, -1, v36
	;; [unrolled: 1-line block ×3, first 2 shown]
	v_add_nc_u32_e32 v33, 32, v33
	v_add_nc_u32_e32 v35, 32, v35
	;; [unrolled: 1-line block ×3, first 2 shown]
	v_ffbh_i32_e32 v44, v32
	v_ashrrev_i32_e32 v43, 31, v43
	v_min_u32_e32 v33, v34, v33
	v_min_u32_e32 v35, v36, v35
	;; [unrolled: 1-line block ×3, first 2 shown]
	v_add_nc_u32_e32 v44, -1, v44
	v_add_nc_u32_e32 v43, 32, v43
	v_lshlrev_b64 v[29:30], v33, v[29:30]
	v_lshlrev_b64 v[27:28], v35, v[27:28]
	;; [unrolled: 1-line block ×3, first 2 shown]
	v_sub_nc_u32_e32 v33, 32, v33
	v_min_u32_e32 v34, v44, v43
	v_sub_nc_u32_e32 v35, 32, v35
	v_min_u32_e32 v29, 1, v29
	v_min_u32_e32 v27, 1, v27
	;; [unrolled: 1-line block ×3, first 2 shown]
	v_lshlrev_b64 v[31:32], v34, v[31:32]
	v_sub_nc_u32_e32 v36, 32, v36
	v_mov_b32_e32 v10, v2
	v_ashrrev_i32_e32 v13, 31, v3
	v_or_b32_e32 v25, v26, v25
	v_or_b32_e32 v26, v28, v27
	;; [unrolled: 1-line block ×3, first 2 shown]
	v_min_u32_e32 v31, 1, v31
	v_mov_b32_e32 v12, v3
	v_cvt_f32_i32_e32 v25, v25
	v_cvt_f32_i32_e32 v26, v26
	;; [unrolled: 1-line block ×3, first 2 shown]
	v_or_b32_e32 v31, v32, v31
	v_ashrrev_i32_e32 v15, 31, v4
	v_ashrrev_i32_e32 v17, 31, v5
	v_mov_b32_e32 v16, v5
	v_ldexp_f32 v25, v25, v36
	v_ldexp_f32 v26, v26, v35
	;; [unrolled: 1-line block ×3, first 2 shown]
	v_add_co_u32 v22, s1, s10, v4
	v_sub_nc_u32_e32 v34, 32, v34
	v_cvt_f32_i32_e32 v28, v31
	v_add_co_ci_u32_e64 v23, null, s11, v15, s1
	v_cmp_gt_i64_e64 s1, s[12:13], v[10:11]
	v_cmp_gt_i64_e64 s3, s[14:15], v[12:13]
	v_cmp_gt_i64_e32 vcc_lo, s[18:19], v[16:17]
	v_fma_f32 v16, -s33, v25, v0
	v_fma_f32 v25, -s31, v26, v0
	;; [unrolled: 1-line block ×3, first 2 shown]
	v_mov_b32_e32 v14, v4
	v_ldexp_f32 v28, v28, v34
	v_add_co_u32 v20, s0, s10, v3
	v_cndmask_b32_e64 v10, v25, v39, s3
	v_cndmask_b32_e64 v11, v26, v40, s1
	v_add_co_ci_u32_e64 v21, null, s11, v13, s0
	v_cmp_gt_i64_e64 s0, s[16:17], v[14:15]
	v_fma_f32 v28, -s34, v28, v0
	v_cvt_i32_f32_sdwa v10, v10 dst_sel:BYTE_1 dst_unused:UNUSED_PAD src0_sel:DWORD
	v_cvt_i32_f32_e32 v11, v11
	v_add_nc_u32_e32 v9, -4, v9
	v_add_co_u32 v24, s2, s10, v5
	v_cndmask_b32_e64 v12, v16, v38, s0
	v_cndmask_b32_e32 v13, v28, v37, vcc_lo
	v_or_b32_sdwa v10, v11, v10 dst_sel:DWORD dst_unused:UNUSED_PAD src0_sel:BYTE_0 src1_sel:DWORD
	v_cmp_eq_u32_e32 vcc_lo, 0, v9
	v_add_nc_u32_e32 v5, s38, v5
	v_cvt_i32_f32_e32 v12, v12
	v_cvt_i32_f32_sdwa v13, v13 dst_sel:BYTE_1 dst_unused:UNUSED_PAD src0_sel:DWORD
	v_and_b32_e32 v10, 0xffff, v10
	v_add_nc_u32_e32 v4, s37, v4
	v_add_nc_u32_e32 v3, s36, v3
	;; [unrolled: 1-line block ×3, first 2 shown]
	v_or_b32_sdwa v11, v12, v13 dst_sel:DWORD dst_unused:UNUSED_PAD src0_sel:BYTE_0 src1_sel:DWORD
	v_lshrrev_b32_e32 v13, 8, v10
	v_add_co_ci_u32_e64 v25, null, s11, v17, s2
	s_or_b32 s24, vcc_lo, s24
	v_lshrrev_b32_e32 v12, 8, v11
	global_store_byte v[18:19], v10, off
	global_store_byte v[20:21], v13, off
	;; [unrolled: 1-line block ×4, first 2 shown]
	s_andn2_b32 exec_lo, exec_lo, s24
	s_cbranch_execnz .LBB2_3
; %bb.4:
	s_or_b32 exec_lo, exec_lo, s24
	v_mad_u64_u32 v[1:2], null, v8, s21, v[1:2]
	v_cmp_ne_u32_e32 vcc_lo, v7, v8
	s_orn2_b32 s0, vcc_lo, exec_lo
.LBB2_5:
	s_or_b32 exec_lo, exec_lo, s23
	s_and_b32 exec_lo, exec_lo, s0
	s_cbranch_execz .LBB2_12
; %bb.6:
	v_ashrrev_i32_e32 v2, 31, v1
	v_not_b32_e32 v3, v1
	s_ashr_i32 s1, s21, 31
	s_mov_b32 s2, 0
	v_not_b32_e32 v4, v2
	v_add_co_u32 v3, vcc_lo, v3, s6
	v_add_co_ci_u32_e64 v4, null, s7, v4, vcc_lo
	s_inst_prefetch 0x1
	s_branch .LBB2_8
	.p2align	6
.LBB2_7:                                ;   in Loop: Header=BB2_8 Depth=1
	s_or_b32 exec_lo, exec_lo, s0
	v_add_co_u32 v7, vcc_lo, s10, v1
	v_add_co_u32 v1, s0, v1, s21
	v_add_co_ci_u32_e64 v8, null, s11, v2, vcc_lo
	v_add_co_ci_u32_e64 v2, null, s1, v2, s0
	v_cmp_le_i32_e32 vcc_lo, s20, v1
	v_sub_co_u32 v3, s0, v3, s21
	v_cvt_i32_f32_e32 v5, v5
	v_subrev_co_ci_u32_e64 v4, null, s1, v4, s0
	s_or_b32 s2, vcc_lo, s2
	global_store_byte v[7:8], v5, off
	s_andn2_b32 exec_lo, exec_lo, s2
	s_cbranch_execz .LBB2_12
.LBB2_8:                                ; =>This Inner Loop Header: Depth=1
	s_mov_b32 s0, exec_lo
                                        ; implicit-def: $vgpr5
	v_cmpx_le_i64_e64 s[8:9], v[1:2]
	s_xor_b32 s0, exec_lo, s0
	s_cbranch_execz .LBB2_10
; %bb.9:                                ;   in Loop: Header=BB2_8 Depth=1
	v_xor_b32_e32 v5, v3, v4
	v_ffbh_i32_e32 v7, v4
	v_ashrrev_i32_e32 v5, 31, v5
	v_add_nc_u32_e32 v7, -1, v7
	v_add_nc_u32_e32 v5, 32, v5
	v_min_u32_e32 v5, v7, v5
	v_lshlrev_b64 v[7:8], v5, v[3:4]
	v_sub_nc_u32_e32 v5, 32, v5
	v_min_u32_e32 v7, 1, v7
	v_or_b32_e32 v7, v8, v7
	v_cvt_f32_i32_e32 v7, v7
	v_ldexp_f32 v5, v7, v5
	v_fma_f32 v5, -s22, v5, v0
.LBB2_10:                               ;   in Loop: Header=BB2_8 Depth=1
	s_andn2_saveexec_b32 s0, s0
	s_cbranch_execz .LBB2_7
; %bb.11:                               ;   in Loop: Header=BB2_8 Depth=1
	v_cvt_f32_i32_e32 v5, v1
	v_fma_f32 v5, s22, v5, v6
	s_branch .LBB2_7
.LBB2_12:
	s_inst_prefetch 0x2
	s_endpgm
	.section	.rodata,"a",@progbits
	.p2align	6, 0x0
	.amdhsa_kernel _ZN12_GLOBAL__N_141elementwise_kernel_with_index_grid_strideIiZZZN2at6native17linspace_cuda_outERKN3c106ScalarES6_lRNS1_6TensorEENKUlvE_clEvENKUlvE0_clEvEUllE_EEvT_T0_PN15function_traitsISD_E11result_typeE
		.amdhsa_group_segment_fixed_size 0
		.amdhsa_private_segment_fixed_size 0
		.amdhsa_kernarg_size 304
		.amdhsa_user_sgpr_count 6
		.amdhsa_user_sgpr_private_segment_buffer 1
		.amdhsa_user_sgpr_dispatch_ptr 0
		.amdhsa_user_sgpr_queue_ptr 0
		.amdhsa_user_sgpr_kernarg_segment_ptr 1
		.amdhsa_user_sgpr_dispatch_id 0
		.amdhsa_user_sgpr_flat_scratch_init 0
		.amdhsa_user_sgpr_private_segment_size 0
		.amdhsa_wavefront_size32 1
		.amdhsa_uses_dynamic_stack 0
		.amdhsa_system_sgpr_private_segment_wavefront_offset 0
		.amdhsa_system_sgpr_workgroup_id_x 1
		.amdhsa_system_sgpr_workgroup_id_y 0
		.amdhsa_system_sgpr_workgroup_id_z 0
		.amdhsa_system_sgpr_workgroup_info 0
		.amdhsa_system_vgpr_workitem_id 0
		.amdhsa_next_free_vgpr 45
		.amdhsa_next_free_sgpr 39
		.amdhsa_reserve_vcc 1
		.amdhsa_reserve_flat_scratch 0
		.amdhsa_float_round_mode_32 0
		.amdhsa_float_round_mode_16_64 0
		.amdhsa_float_denorm_mode_32 3
		.amdhsa_float_denorm_mode_16_64 3
		.amdhsa_dx10_clamp 1
		.amdhsa_ieee_mode 1
		.amdhsa_fp16_overflow 0
		.amdhsa_workgroup_processor_mode 1
		.amdhsa_memory_ordered 1
		.amdhsa_forward_progress 1
		.amdhsa_shared_vgpr_count 0
		.amdhsa_exception_fp_ieee_invalid_op 0
		.amdhsa_exception_fp_denorm_src 0
		.amdhsa_exception_fp_ieee_div_zero 0
		.amdhsa_exception_fp_ieee_overflow 0
		.amdhsa_exception_fp_ieee_underflow 0
		.amdhsa_exception_fp_ieee_inexact 0
		.amdhsa_exception_int_div_zero 0
	.end_amdhsa_kernel
	.section	.text._ZN12_GLOBAL__N_141elementwise_kernel_with_index_grid_strideIiZZZN2at6native17linspace_cuda_outERKN3c106ScalarES6_lRNS1_6TensorEENKUlvE_clEvENKUlvE0_clEvEUllE_EEvT_T0_PN15function_traitsISD_E11result_typeE,"axG",@progbits,_ZN12_GLOBAL__N_141elementwise_kernel_with_index_grid_strideIiZZZN2at6native17linspace_cuda_outERKN3c106ScalarES6_lRNS1_6TensorEENKUlvE_clEvENKUlvE0_clEvEUllE_EEvT_T0_PN15function_traitsISD_E11result_typeE,comdat
.Lfunc_end2:
	.size	_ZN12_GLOBAL__N_141elementwise_kernel_with_index_grid_strideIiZZZN2at6native17linspace_cuda_outERKN3c106ScalarES6_lRNS1_6TensorEENKUlvE_clEvENKUlvE0_clEvEUllE_EEvT_T0_PN15function_traitsISD_E11result_typeE, .Lfunc_end2-_ZN12_GLOBAL__N_141elementwise_kernel_with_index_grid_strideIiZZZN2at6native17linspace_cuda_outERKN3c106ScalarES6_lRNS1_6TensorEENKUlvE_clEvENKUlvE0_clEvEUllE_EEvT_T0_PN15function_traitsISD_E11result_typeE
                                        ; -- End function
	.set _ZN12_GLOBAL__N_141elementwise_kernel_with_index_grid_strideIiZZZN2at6native17linspace_cuda_outERKN3c106ScalarES6_lRNS1_6TensorEENKUlvE_clEvENKUlvE0_clEvEUllE_EEvT_T0_PN15function_traitsISD_E11result_typeE.num_vgpr, 45
	.set _ZN12_GLOBAL__N_141elementwise_kernel_with_index_grid_strideIiZZZN2at6native17linspace_cuda_outERKN3c106ScalarES6_lRNS1_6TensorEENKUlvE_clEvENKUlvE0_clEvEUllE_EEvT_T0_PN15function_traitsISD_E11result_typeE.num_agpr, 0
	.set _ZN12_GLOBAL__N_141elementwise_kernel_with_index_grid_strideIiZZZN2at6native17linspace_cuda_outERKN3c106ScalarES6_lRNS1_6TensorEENKUlvE_clEvENKUlvE0_clEvEUllE_EEvT_T0_PN15function_traitsISD_E11result_typeE.numbered_sgpr, 39
	.set _ZN12_GLOBAL__N_141elementwise_kernel_with_index_grid_strideIiZZZN2at6native17linspace_cuda_outERKN3c106ScalarES6_lRNS1_6TensorEENKUlvE_clEvENKUlvE0_clEvEUllE_EEvT_T0_PN15function_traitsISD_E11result_typeE.num_named_barrier, 0
	.set _ZN12_GLOBAL__N_141elementwise_kernel_with_index_grid_strideIiZZZN2at6native17linspace_cuda_outERKN3c106ScalarES6_lRNS1_6TensorEENKUlvE_clEvENKUlvE0_clEvEUllE_EEvT_T0_PN15function_traitsISD_E11result_typeE.private_seg_size, 0
	.set _ZN12_GLOBAL__N_141elementwise_kernel_with_index_grid_strideIiZZZN2at6native17linspace_cuda_outERKN3c106ScalarES6_lRNS1_6TensorEENKUlvE_clEvENKUlvE0_clEvEUllE_EEvT_T0_PN15function_traitsISD_E11result_typeE.uses_vcc, 1
	.set _ZN12_GLOBAL__N_141elementwise_kernel_with_index_grid_strideIiZZZN2at6native17linspace_cuda_outERKN3c106ScalarES6_lRNS1_6TensorEENKUlvE_clEvENKUlvE0_clEvEUllE_EEvT_T0_PN15function_traitsISD_E11result_typeE.uses_flat_scratch, 0
	.set _ZN12_GLOBAL__N_141elementwise_kernel_with_index_grid_strideIiZZZN2at6native17linspace_cuda_outERKN3c106ScalarES6_lRNS1_6TensorEENKUlvE_clEvENKUlvE0_clEvEUllE_EEvT_T0_PN15function_traitsISD_E11result_typeE.has_dyn_sized_stack, 0
	.set _ZN12_GLOBAL__N_141elementwise_kernel_with_index_grid_strideIiZZZN2at6native17linspace_cuda_outERKN3c106ScalarES6_lRNS1_6TensorEENKUlvE_clEvENKUlvE0_clEvEUllE_EEvT_T0_PN15function_traitsISD_E11result_typeE.has_recursion, 0
	.set _ZN12_GLOBAL__N_141elementwise_kernel_with_index_grid_strideIiZZZN2at6native17linspace_cuda_outERKN3c106ScalarES6_lRNS1_6TensorEENKUlvE_clEvENKUlvE0_clEvEUllE_EEvT_T0_PN15function_traitsISD_E11result_typeE.has_indirect_call, 0
	.section	.AMDGPU.csdata,"",@progbits
; Kernel info:
; codeLenInByte = 1412
; TotalNumSgprs: 41
; NumVgprs: 45
; ScratchSize: 0
; MemoryBound: 0
; FloatMode: 240
; IeeeMode: 1
; LDSByteSize: 0 bytes/workgroup (compile time only)
; SGPRBlocks: 0
; VGPRBlocks: 5
; NumSGPRsForWavesPerEU: 41
; NumVGPRsForWavesPerEU: 45
; Occupancy: 16
; WaveLimiterHint : 0
; COMPUTE_PGM_RSRC2:SCRATCH_EN: 0
; COMPUTE_PGM_RSRC2:USER_SGPR: 6
; COMPUTE_PGM_RSRC2:TRAP_HANDLER: 0
; COMPUTE_PGM_RSRC2:TGID_X_EN: 1
; COMPUTE_PGM_RSRC2:TGID_Y_EN: 0
; COMPUTE_PGM_RSRC2:TGID_Z_EN: 0
; COMPUTE_PGM_RSRC2:TIDIG_COMP_CNT: 0
	.section	.text._ZN12_GLOBAL__N_141elementwise_kernel_with_index_grid_strideIlZZZN2at6native17linspace_cuda_outERKN3c106ScalarES6_lRNS1_6TensorEENKUlvE_clEvENKUlvE0_clEvEUllE_EEvT_T0_PN15function_traitsISD_E11result_typeE,"axG",@progbits,_ZN12_GLOBAL__N_141elementwise_kernel_with_index_grid_strideIlZZZN2at6native17linspace_cuda_outERKN3c106ScalarES6_lRNS1_6TensorEENKUlvE_clEvENKUlvE0_clEvEUllE_EEvT_T0_PN15function_traitsISD_E11result_typeE,comdat
	.globl	_ZN12_GLOBAL__N_141elementwise_kernel_with_index_grid_strideIlZZZN2at6native17linspace_cuda_outERKN3c106ScalarES6_lRNS1_6TensorEENKUlvE_clEvENKUlvE0_clEvEUllE_EEvT_T0_PN15function_traitsISD_E11result_typeE ; -- Begin function _ZN12_GLOBAL__N_141elementwise_kernel_with_index_grid_strideIlZZZN2at6native17linspace_cuda_outERKN3c106ScalarES6_lRNS1_6TensorEENKUlvE_clEvENKUlvE0_clEvEUllE_EEvT_T0_PN15function_traitsISD_E11result_typeE
	.p2align	8
	.type	_ZN12_GLOBAL__N_141elementwise_kernel_with_index_grid_strideIlZZZN2at6native17linspace_cuda_outERKN3c106ScalarES6_lRNS1_6TensorEENKUlvE_clEvENKUlvE0_clEvEUllE_EEvT_T0_PN15function_traitsISD_E11result_typeE,@function
_ZN12_GLOBAL__N_141elementwise_kernel_with_index_grid_strideIlZZZN2at6native17linspace_cuda_outERKN3c106ScalarES6_lRNS1_6TensorEENKUlvE_clEvENKUlvE0_clEvEUllE_EEvT_T0_PN15function_traitsISD_E11result_typeE: ; @_ZN12_GLOBAL__N_141elementwise_kernel_with_index_grid_strideIlZZZN2at6native17linspace_cuda_outERKN3c106ScalarES6_lRNS1_6TensorEENKUlvE_clEvENKUlvE0_clEvEUllE_EEvT_T0_PN15function_traitsISD_E11result_typeE
; %bb.0:
	s_clause 0x1
	s_load_dword s2, s[4:5], 0x3c
	s_load_dwordx2 s[12:13], s[4:5], 0x0
	s_add_u32 s0, s4, 48
	s_addc_u32 s1, s5, 0
	v_mov_b32_e32 v3, 0
	s_waitcnt lgkmcnt(0)
	s_and_b32 s31, s2, 0xffff
	s_mul_i32 s26, s31, s6
	s_mul_hi_u32 s7, s31, s6
	v_add_co_u32 v1, s2, s26, v0
	v_add_co_ci_u32_e64 v2, null, s7, 0, s2
	s_mov_b32 s2, exec_lo
	v_cmpx_gt_i64_e64 s[12:13], v[1:2]
	s_cbranch_execz .LBB3_16
; %bb.1:
	s_load_dword s2, s[0:1], 0x0
	s_waitcnt lgkmcnt(0)
	s_add_u32 s0, s6, s2
	s_addc_u32 s1, 0, 0
	s_mul_hi_u32 s3, s0, s31
	s_mul_i32 s1, s1, s31
	s_mul_i32 s27, s0, s31
	s_add_i32 s28, s3, s1
	v_add_co_u32 v6, s0, s27, v0
	v_add_co_ci_u32_e64 v7, null, s28, 0, s0
	s_load_dword s1, s[4:5], 0x8
	s_mul_hi_u32 s15, s31, s2
	s_mov_b32 s3, 0
	v_cmp_gt_i64_e32 vcc_lo, s[12:13], v[6:7]
	s_mul_i32 s14, s31, s2
	v_cndmask_b32_e64 v5, 0, 1, vcc_lo
	v_cndmask_b32_e64 v4, v7, s13, vcc_lo
	;; [unrolled: 1-line block ×3, first 2 shown]
	v_add_co_u32 v6, vcc_lo, v6, v5
	v_add_co_ci_u32_e64 v7, null, 0, v7, vcc_lo
	v_sub_co_u32 v6, vcc_lo, v8, v6
	v_sub_co_ci_u32_e64 v7, null, v4, v7, vcc_lo
	v_or_b32_e32 v4, s15, v7
	v_cmp_ne_u64_e32 vcc_lo, 0, v[3:4]
                                        ; implicit-def: $vgpr3_vgpr4
	s_and_saveexec_b32 s0, vcc_lo
	s_xor_b32 s8, exec_lo, s0
	s_cbranch_execz .LBB3_3
; %bb.2:
	v_cvt_f32_u32_e32 v3, s14
	v_cvt_f32_u32_e32 v4, s15
	s_sub_u32 s10, 0, s14
	s_subb_u32 s11, 0, s15
	v_fmamk_f32 v3, v4, 0x4f800000, v3
	v_rcp_f32_e32 v3, v3
	v_mul_f32_e32 v3, 0x5f7ffffc, v3
	v_mul_f32_e32 v4, 0x2f800000, v3
	v_trunc_f32_e32 v4, v4
	v_fmamk_f32 v3, v4, 0xcf800000, v3
	v_cvt_u32_f32_e32 v4, v4
	v_cvt_u32_f32_e32 v3, v3
	v_readfirstlane_b32 s0, v4
	v_readfirstlane_b32 s9, v3
	s_mul_i32 s16, s10, s0
	s_mul_hi_u32 s18, s10, s9
	s_mul_i32 s17, s11, s9
	s_add_i32 s16, s18, s16
	s_mul_i32 s19, s10, s9
	s_add_i32 s16, s16, s17
	s_mul_hi_u32 s18, s9, s19
	s_mul_i32 s21, s9, s16
	s_mul_hi_u32 s20, s0, s19
	s_mul_i32 s17, s0, s19
	s_mul_hi_u32 s19, s9, s16
	s_add_u32 s18, s18, s21
	s_addc_u32 s19, 0, s19
	s_mul_hi_u32 s22, s0, s16
	s_add_u32 s17, s18, s17
	s_mul_i32 s16, s0, s16
	s_addc_u32 s17, s19, s20
	s_addc_u32 s18, s22, 0
	s_add_u32 s16, s17, s16
	s_addc_u32 s17, 0, s18
	s_add_u32 s9, s9, s16
	s_cselect_b32 s16, -1, 0
	s_mul_hi_u32 s18, s10, s9
	s_cmp_lg_u32 s16, 0
	s_mul_i32 s16, s10, s9
	s_addc_u32 s0, s0, s17
	s_mul_i32 s11, s11, s9
	s_mul_i32 s10, s10, s0
	s_mul_hi_u32 s17, s9, s16
	s_add_i32 s10, s18, s10
	s_mul_hi_u32 s18, s0, s16
	s_add_i32 s10, s10, s11
	s_mul_i32 s11, s0, s16
	s_mul_i32 s20, s9, s10
	s_mul_hi_u32 s19, s9, s10
	s_add_u32 s17, s17, s20
	s_addc_u32 s19, 0, s19
	s_mul_hi_u32 s16, s0, s10
	s_add_u32 s11, s17, s11
	s_mul_i32 s10, s0, s10
	s_addc_u32 s11, s19, s18
	s_addc_u32 s16, s16, 0
	s_add_u32 s10, s11, s10
	s_addc_u32 s11, 0, s16
	s_add_u32 s9, s9, s10
	s_cselect_b32 s10, -1, 0
	v_mul_hi_u32 v12, v6, s9
	s_cmp_lg_u32 s10, 0
	v_mad_u64_u32 v[8:9], null, v7, s9, 0
	s_addc_u32 s0, s0, s11
	v_mad_u64_u32 v[3:4], null, v6, s0, 0
	v_mad_u64_u32 v[10:11], null, v7, s0, 0
	v_add_co_u32 v3, vcc_lo, v12, v3
	v_add_co_ci_u32_e64 v4, null, 0, v4, vcc_lo
	v_add_co_u32 v3, vcc_lo, v3, v8
	v_add_co_ci_u32_e32 v3, vcc_lo, v4, v9, vcc_lo
	v_add_co_ci_u32_e32 v4, vcc_lo, 0, v11, vcc_lo
	v_add_co_u32 v8, vcc_lo, v3, v10
	v_add_co_ci_u32_e64 v9, null, 0, v4, vcc_lo
	v_mul_lo_u32 v10, s15, v8
	v_mad_u64_u32 v[3:4], null, s14, v8, 0
	v_mul_lo_u32 v11, s14, v9
	v_sub_co_u32 v3, vcc_lo, v6, v3
	v_add3_u32 v4, v4, v11, v10
	v_sub_nc_u32_e32 v10, v7, v4
	v_sub_co_ci_u32_e64 v4, null, v7, v4, vcc_lo
	v_subrev_co_ci_u32_e64 v6, null, s15, v10, vcc_lo
	v_add_co_u32 v10, s0, v8, 2
	v_add_co_ci_u32_e64 v11, null, 0, v9, s0
	v_sub_co_u32 v12, s0, v3, s14
	v_subrev_co_ci_u32_e64 v6, null, 0, v6, s0
	v_cmp_eq_u32_e64 s0, s15, v4
	v_cmp_le_u32_e32 vcc_lo, s14, v12
	v_cndmask_b32_e64 v7, 0, -1, vcc_lo
	v_cmp_le_u32_e32 vcc_lo, s15, v6
	v_cndmask_b32_e64 v12, 0, -1, vcc_lo
	;; [unrolled: 2-line block ×4, first 2 shown]
	v_cmp_eq_u32_e32 vcc_lo, s15, v6
	v_cndmask_b32_e64 v3, v13, v3, s0
	v_cndmask_b32_e32 v6, v12, v7, vcc_lo
	v_add_co_u32 v7, vcc_lo, v8, 1
	v_add_co_ci_u32_e64 v12, null, 0, v9, vcc_lo
	v_cmp_ne_u32_e32 vcc_lo, 0, v6
	v_cndmask_b32_e32 v4, v12, v11, vcc_lo
	v_cndmask_b32_e32 v6, v7, v10, vcc_lo
	v_cmp_ne_u32_e32 vcc_lo, 0, v3
	v_cndmask_b32_e32 v4, v9, v4, vcc_lo
	v_cndmask_b32_e32 v3, v8, v6, vcc_lo
                                        ; implicit-def: $vgpr6
.LBB3_3:
	s_or_saveexec_b32 s18, s8
	s_clause 0x1
	s_load_dwordx2 s[16:17], s[4:5], 0x10
	s_load_dwordx4 s[8:11], s[4:5], 0x20
	s_waitcnt lgkmcnt(0)
	s_bfe_u32 s0, s1, 0x80008
	s_xor_b32 exec_lo, exec_lo, s18
	s_cbranch_execz .LBB3_5
; %bb.4:
	v_cvt_f32_u32_e32 v3, s14
	s_sub_i32 s19, 0, s14
	v_rcp_iflag_f32_e32 v3, v3
	v_mul_f32_e32 v3, 0x4f7ffffe, v3
	v_cvt_u32_f32_e32 v3, v3
	v_mul_lo_u32 v4, s19, v3
	v_mul_hi_u32 v4, v3, v4
	v_add_nc_u32_e32 v3, v3, v4
	v_mul_hi_u32 v3, v6, v3
	v_mul_lo_u32 v4, v3, s14
	v_sub_nc_u32_e32 v4, v6, v4
	v_add_nc_u32_e32 v6, 1, v3
	v_subrev_nc_u32_e32 v7, s14, v4
	v_cmp_le_u32_e32 vcc_lo, s14, v4
	v_cndmask_b32_e32 v4, v4, v7, vcc_lo
	v_cndmask_b32_e32 v3, v3, v6, vcc_lo
	v_cmp_le_u32_e32 vcc_lo, s14, v4
	v_add_nc_u32_e32 v6, 1, v3
	v_mov_b32_e32 v4, 0
	v_cndmask_b32_e32 v3, v3, v6, vcc_lo
.LBB3_5:
	s_or_b32 exec_lo, exec_lo, s18
	s_load_dword s29, s[4:5], 0x18
	v_add_co_u32 v3, vcc_lo, v3, v5
	s_bfe_i32 s0, s0, 0x80000
	v_add_co_ci_u32_e64 v4, null, 0, v4, vcc_lo
	s_sext_i32_i16 s0, s0
	s_bfe_i32 s1, s1, 0x80000
	v_add_co_u32 v11, vcc_lo, v3, 1
	v_cvt_f32_i32_e32 v17, s0
	s_sext_i32_i16 s0, s1
	v_add_co_ci_u32_e64 v12, null, 0, v4, vcc_lo
	v_cvt_f32_i32_e32 v18, s0
	s_mov_b32 s0, -1
	s_mov_b32 s30, exec_lo
	v_cmpx_lt_u64_e32 3, v[11:12]
	s_cbranch_execz .LBB3_9
; %bb.6:
	v_mad_u64_u32 v[7:8], null, s14, 3, v[1:2]
	s_mul_i32 s0, s2, 3
	v_mad_u64_u32 v[5:6], null, s14, 2, v[1:2]
	v_mad_u64_u32 v[3:4], null, s14, 1, v[1:2]
	s_lshl_b64 s[24:25], s[14:15], 2
	s_mul_hi_u32 s1, s2, 3
	v_mad_u64_u32 v[8:9], null, s15, 3, v[8:9]
	s_add_u32 s49, s0, s6
	s_addc_u32 s0, s1, 0
	v_mov_b32_e32 v14, v12
	s_mul_i32 s0, s0, s31
	s_mul_hi_u32 s1, s49, s31
	v_and_b32_e32 v13, -4, v11
	s_add_i32 s48, s1, s0
	s_lshl_b64 s[0:1], s[2:3], 1
	v_lshl_add_u32 v6, s15, 1, v6
	v_add_nc_u32_e32 v4, s15, v4
	s_add_u32 s0, s0, s6
	v_add_co_u32 v0, s2, s10, v0
	s_addc_u32 s1, s1, 0
	v_mov_b32_e32 v16, v14
	v_mov_b32_e32 v10, v8
	v_add_co_ci_u32_e64 v19, null, s11, 0, s2
	v_mov_b32_e32 v15, v13
	v_mov_b32_e32 v9, v7
	;; [unrolled: 1-line block ×8, first 2 shown]
	s_mul_i32 s1, s1, s31
	s_mul_hi_u32 s2, s0, s31
	s_mov_b32 s4, s8
	s_mov_b32 s5, s9
	;; [unrolled: 1-line block ×14, first 2 shown]
	s_waitcnt lgkmcnt(0)
	s_mov_b32 s39, s29
	s_mov_b32 s40, s29
	;; [unrolled: 1-line block ×9, first 2 shown]
	s_mul_i32 s49, s49, s31
	s_add_i32 s6, s2, s1
	s_mul_i32 s50, s0, s31
	s_mov_b32 s31, 0
.LBB3_7:                                ; =>This Inner Loop Header: Depth=1
	v_add_co_u32 v20, vcc_lo, v0, s26
	v_add_co_ci_u32_e64 v21, null, s7, v19, vcc_lo
	v_add_co_u32 v22, vcc_lo, v0, s27
	v_add_co_ci_u32_e64 v23, null, s28, v19, vcc_lo
	;; [unrolled: 2-line block ×3, first 2 shown]
	v_add_co_u32 v26, vcc_lo, v0, s49
	v_not_b32_e32 v28, v9
	v_add_co_ci_u32_e64 v27, null, s48, v19, vcc_lo
	v_add_co_u32 v15, vcc_lo, v15, -4
	v_not_b32_e32 v30, v7
	v_not_b32_e32 v29, v10
	v_add_co_ci_u32_e64 v16, null, -1, v16, vcc_lo
	v_add_co_u32 v0, vcc_lo, v0, s24
	v_not_b32_e32 v32, v5
	v_not_b32_e32 v31, v8
	v_add_co_ci_u32_e64 v19, null, s25, v19, vcc_lo
	v_add_co_u32 v28, vcc_lo, s37, v28
	v_not_b32_e32 v34, v3
	v_not_b32_e32 v33, v6
	v_add_co_ci_u32_e64 v29, null, s38, v29, vcc_lo
	v_add_co_u32 v30, vcc_lo, s35, v30
	v_not_b32_e32 v35, v4
	v_add_co_ci_u32_e64 v31, null, s36, v31, vcc_lo
	v_add_co_u32 v32, vcc_lo, s33, v32
	v_add_co_ci_u32_e64 v33, null, s34, v33, vcc_lo
	v_add_co_u32 v34, vcc_lo, s16, v34
	v_ffbh_u32_e32 v36, v4
	v_ffbh_u32_e32 v37, v6
	;; [unrolled: 1-line block ×4, first 2 shown]
	v_add_co_ci_u32_e64 v35, null, s17, v35, vcc_lo
	v_min_u32_e32 v40, 32, v36
	v_min_u32_e32 v41, 32, v37
	;; [unrolled: 1-line block ×4, first 2 shown]
	v_xor_b32_e32 v45, v34, v35
	v_xor_b32_e32 v47, v32, v33
	;; [unrolled: 1-line block ×4, first 2 shown]
	v_lshlrev_b64 v[36:37], v40, v[3:4]
	v_sub_nc_u32_e32 v53, 32, v40
	v_lshlrev_b64 v[38:39], v41, v[5:6]
	v_sub_nc_u32_e32 v54, 32, v41
	;; [unrolled: 2-line block ×3, first 2 shown]
	v_lshlrev_b64 v[42:43], v44, v[9:10]
	v_ffbh_i32_e32 v46, v35
	v_ffbh_i32_e32 v48, v33
	;; [unrolled: 1-line block ×4, first 2 shown]
	v_ashrrev_i32_e32 v45, 31, v45
	v_ashrrev_i32_e32 v47, 31, v47
	;; [unrolled: 1-line block ×4, first 2 shown]
	v_add_nc_u32_e32 v46, -1, v46
	v_add_nc_u32_e32 v48, -1, v48
	;; [unrolled: 1-line block ×4, first 2 shown]
	v_min_u32_e32 v36, 1, v36
	v_min_u32_e32 v38, 1, v38
	;; [unrolled: 1-line block ×4, first 2 shown]
	v_add_nc_u32_e32 v45, 32, v45
	v_add_nc_u32_e32 v47, 32, v47
	;; [unrolled: 1-line block ×4, first 2 shown]
	v_or_b32_e32 v36, v37, v36
	v_or_b32_e32 v37, v39, v38
	;; [unrolled: 1-line block ×4, first 2 shown]
	v_min_u32_e32 v40, v46, v45
	v_min_u32_e32 v41, v48, v47
	;; [unrolled: 1-line block ×4, first 2 shown]
	v_cvt_f32_u32_e32 v36, v36
	v_lshlrev_b64 v[34:35], v40, v[34:35]
	v_lshlrev_b64 v[32:33], v41, v[32:33]
	;; [unrolled: 1-line block ×4, first 2 shown]
	v_cvt_f32_u32_e32 v37, v37
	v_sub_nc_u32_e32 v40, 32, v40
	v_min_u32_e32 v34, 1, v34
	v_min_u32_e32 v32, 1, v32
	;; [unrolled: 1-line block ×4, first 2 shown]
	v_sub_nc_u32_e32 v41, 32, v41
	v_sub_nc_u32_e32 v44, 32, v44
	v_cvt_f32_u32_e32 v38, v38
	v_cvt_f32_u32_e32 v39, v39
	v_or_b32_e32 v28, v29, v28
	v_or_b32_e32 v29, v31, v30
	;; [unrolled: 1-line block ×4, first 2 shown]
	v_sub_nc_u32_e32 v42, 32, v42
	v_sub_nc_u32_e32 v43, 32, v43
	v_ldexp_f32 v36, v36, v53
	v_cvt_f32_i32_e32 v30, v30
	v_cvt_f32_i32_e32 v31, v31
	v_ldexp_f32 v37, v37, v54
	v_cvt_f32_i32_e32 v28, v28
	v_cvt_f32_i32_e32 v29, v29
	v_ldexp_f32 v30, v30, v40
	v_ldexp_f32 v31, v31, v41
	v_cmp_eq_u64_e32 vcc_lo, 0, v[15:16]
	v_cmp_gt_i64_e64 s1, s[18:19], v[5:6]
	v_cmp_gt_i64_e64 s2, s[4:5], v[3:4]
	v_ldexp_f32 v38, v38, v55
	v_ldexp_f32 v39, v39, v44
	v_fma_f32 v37, s39, v37, v18
	v_fma_f32 v36, s29, v36, v18
	v_ldexp_f32 v28, v28, v43
	v_ldexp_f32 v29, v29, v42
	v_fma_f32 v31, -s39, v31, v17
	v_fma_f32 v30, -s29, v30, v17
	s_or_b32 s31, vcc_lo, s31
	v_cmp_gt_i64_e32 vcc_lo, s[22:23], v[9:10]
	v_cmp_gt_i64_e64 s0, s[20:21], v[7:8]
	v_fma_f32 v39, s41, v39, v18
	v_fma_f32 v38, s40, v38, v18
	v_fma_f32 v28, -s41, v28, v17
	v_fma_f32 v29, -s40, v29, v17
	v_cndmask_b32_e64 v31, v31, v37, s1
	v_cndmask_b32_e64 v30, v30, v36, s2
	v_add_co_u32 v9, s3, v9, s46
	v_cndmask_b32_e64 v29, v29, v38, s0
	v_cndmask_b32_e32 v28, v28, v39, vcc_lo
	v_cvt_i32_f32_sdwa v31, v31 dst_sel:BYTE_1 dst_unused:UNUSED_PAD src0_sel:DWORD
	v_cvt_i32_f32_e32 v30, v30
	v_add_co_ci_u32_e64 v10, null, s47, v10, s3
	v_cvt_i32_f32_sdwa v28, v28 dst_sel:BYTE_1 dst_unused:UNUSED_PAD src0_sel:DWORD
	v_cvt_i32_f32_e32 v29, v29
	v_or_b32_sdwa v30, v30, v31 dst_sel:DWORD dst_unused:UNUSED_PAD src0_sel:BYTE_0 src1_sel:DWORD
	v_add_co_u32 v7, s3, v7, s44
	v_add_co_ci_u32_e64 v8, null, s45, v8, s3
	v_or_b32_sdwa v28, v29, v28 dst_sel:DWORD dst_unused:UNUSED_PAD src0_sel:BYTE_0 src1_sel:DWORD
	v_and_b32_e32 v29, 0xffff, v30
	v_add_co_u32 v5, s3, v5, s42
	v_add_co_u32 v3, vcc_lo, v3, s24
	v_add_co_ci_u32_e64 v6, null, s43, v6, s3
	v_add_co_ci_u32_e64 v4, null, s25, v4, vcc_lo
	v_lshrrev_b32_e32 v31, 8, v29
	v_lshrrev_b32_e32 v30, 8, v28
	global_store_byte v[20:21], v29, off
	global_store_byte v[22:23], v31, off
	;; [unrolled: 1-line block ×4, first 2 shown]
	s_andn2_b32 exec_lo, exec_lo, s31
	s_cbranch_execnz .LBB3_7
; %bb.8:
	s_or_b32 exec_lo, exec_lo, s31
	v_mad_u64_u32 v[1:2], null, v13, s14, v[1:2]
	v_mul_lo_u32 v0, v13, s15
	v_mul_lo_u32 v3, v14, s14
	v_cmp_ne_u64_e32 vcc_lo, v[11:12], v[13:14]
	s_orn2_b32 s0, vcc_lo, exec_lo
	v_add3_u32 v2, v3, v2, v0
.LBB3_9:
	s_or_b32 exec_lo, exec_lo, s30
	s_and_b32 exec_lo, exec_lo, s0
	s_cbranch_execz .LBB3_16
; %bb.10:
	v_not_b32_e32 v0, v1
	v_not_b32_e32 v4, v2
	s_mov_b32 s1, 0
	v_add_co_u32 v3, vcc_lo, v0, s16
	v_add_co_ci_u32_e64 v4, null, s17, v4, vcc_lo
	s_branch .LBB3_12
.LBB3_11:                               ;   in Loop: Header=BB3_12 Depth=1
	s_or_b32 exec_lo, exec_lo, s0
	v_add_co_u32 v5, vcc_lo, s10, v1
	v_add_co_ci_u32_e64 v6, null, s11, v2, vcc_lo
	v_add_co_u32 v1, vcc_lo, v1, s14
	v_add_co_ci_u32_e64 v2, null, s15, v2, vcc_lo
	v_sub_co_u32 v3, s0, v3, s14
	v_cvt_i32_f32_e32 v0, v0
	v_cmp_le_i64_e32 vcc_lo, s[12:13], v[1:2]
	v_subrev_co_ci_u32_e64 v4, null, s15, v4, s0
	global_store_byte v[5:6], v0, off
	s_or_b32 s1, vcc_lo, s1
	s_andn2_b32 exec_lo, exec_lo, s1
	s_cbranch_execz .LBB3_16
.LBB3_12:                               ; =>This Inner Loop Header: Depth=1
	s_mov_b32 s0, exec_lo
                                        ; implicit-def: $vgpr0
	v_cmpx_le_i64_e64 s[8:9], v[1:2]
	s_xor_b32 s0, exec_lo, s0
	s_cbranch_execz .LBB3_14
; %bb.13:                               ;   in Loop: Header=BB3_12 Depth=1
	v_xor_b32_e32 v0, v3, v4
	v_ffbh_i32_e32 v5, v4
	v_ashrrev_i32_e32 v0, 31, v0
	v_add_nc_u32_e32 v5, -1, v5
	v_add_nc_u32_e32 v0, 32, v0
	v_min_u32_e32 v0, v5, v0
	v_lshlrev_b64 v[5:6], v0, v[3:4]
	v_sub_nc_u32_e32 v0, 32, v0
	v_min_u32_e32 v5, 1, v5
	v_or_b32_e32 v5, v6, v5
	v_cvt_f32_i32_e32 v5, v5
	v_ldexp_f32 v0, v5, v0
	s_waitcnt lgkmcnt(0)
	v_fma_f32 v0, -s29, v0, v17
.LBB3_14:                               ;   in Loop: Header=BB3_12 Depth=1
	s_andn2_saveexec_b32 s0, s0
	s_cbranch_execz .LBB3_11
; %bb.15:                               ;   in Loop: Header=BB3_12 Depth=1
	v_ffbh_u32_e32 v0, v2
	v_min_u32_e32 v0, 32, v0
	v_lshlrev_b64 v[5:6], v0, v[1:2]
	v_sub_nc_u32_e32 v0, 32, v0
	v_min_u32_e32 v5, 1, v5
	v_or_b32_e32 v5, v6, v5
	v_cvt_f32_u32_e32 v5, v5
	v_ldexp_f32 v0, v5, v0
	s_waitcnt lgkmcnt(0)
	v_fma_f32 v0, s29, v0, v18
	s_branch .LBB3_11
.LBB3_16:
	s_endpgm
	.section	.rodata,"a",@progbits
	.p2align	6, 0x0
	.amdhsa_kernel _ZN12_GLOBAL__N_141elementwise_kernel_with_index_grid_strideIlZZZN2at6native17linspace_cuda_outERKN3c106ScalarES6_lRNS1_6TensorEENKUlvE_clEvENKUlvE0_clEvEUllE_EEvT_T0_PN15function_traitsISD_E11result_typeE
		.amdhsa_group_segment_fixed_size 0
		.amdhsa_private_segment_fixed_size 0
		.amdhsa_kernarg_size 304
		.amdhsa_user_sgpr_count 6
		.amdhsa_user_sgpr_private_segment_buffer 1
		.amdhsa_user_sgpr_dispatch_ptr 0
		.amdhsa_user_sgpr_queue_ptr 0
		.amdhsa_user_sgpr_kernarg_segment_ptr 1
		.amdhsa_user_sgpr_dispatch_id 0
		.amdhsa_user_sgpr_flat_scratch_init 0
		.amdhsa_user_sgpr_private_segment_size 0
		.amdhsa_wavefront_size32 1
		.amdhsa_uses_dynamic_stack 0
		.amdhsa_system_sgpr_private_segment_wavefront_offset 0
		.amdhsa_system_sgpr_workgroup_id_x 1
		.amdhsa_system_sgpr_workgroup_id_y 0
		.amdhsa_system_sgpr_workgroup_id_z 0
		.amdhsa_system_sgpr_workgroup_info 0
		.amdhsa_system_vgpr_workitem_id 0
		.amdhsa_next_free_vgpr 56
		.amdhsa_next_free_sgpr 51
		.amdhsa_reserve_vcc 1
		.amdhsa_reserve_flat_scratch 0
		.amdhsa_float_round_mode_32 0
		.amdhsa_float_round_mode_16_64 0
		.amdhsa_float_denorm_mode_32 3
		.amdhsa_float_denorm_mode_16_64 3
		.amdhsa_dx10_clamp 1
		.amdhsa_ieee_mode 1
		.amdhsa_fp16_overflow 0
		.amdhsa_workgroup_processor_mode 1
		.amdhsa_memory_ordered 1
		.amdhsa_forward_progress 1
		.amdhsa_shared_vgpr_count 0
		.amdhsa_exception_fp_ieee_invalid_op 0
		.amdhsa_exception_fp_denorm_src 0
		.amdhsa_exception_fp_ieee_div_zero 0
		.amdhsa_exception_fp_ieee_overflow 0
		.amdhsa_exception_fp_ieee_underflow 0
		.amdhsa_exception_fp_ieee_inexact 0
		.amdhsa_exception_int_div_zero 0
	.end_amdhsa_kernel
	.section	.text._ZN12_GLOBAL__N_141elementwise_kernel_with_index_grid_strideIlZZZN2at6native17linspace_cuda_outERKN3c106ScalarES6_lRNS1_6TensorEENKUlvE_clEvENKUlvE0_clEvEUllE_EEvT_T0_PN15function_traitsISD_E11result_typeE,"axG",@progbits,_ZN12_GLOBAL__N_141elementwise_kernel_with_index_grid_strideIlZZZN2at6native17linspace_cuda_outERKN3c106ScalarES6_lRNS1_6TensorEENKUlvE_clEvENKUlvE0_clEvEUllE_EEvT_T0_PN15function_traitsISD_E11result_typeE,comdat
.Lfunc_end3:
	.size	_ZN12_GLOBAL__N_141elementwise_kernel_with_index_grid_strideIlZZZN2at6native17linspace_cuda_outERKN3c106ScalarES6_lRNS1_6TensorEENKUlvE_clEvENKUlvE0_clEvEUllE_EEvT_T0_PN15function_traitsISD_E11result_typeE, .Lfunc_end3-_ZN12_GLOBAL__N_141elementwise_kernel_with_index_grid_strideIlZZZN2at6native17linspace_cuda_outERKN3c106ScalarES6_lRNS1_6TensorEENKUlvE_clEvENKUlvE0_clEvEUllE_EEvT_T0_PN15function_traitsISD_E11result_typeE
                                        ; -- End function
	.set _ZN12_GLOBAL__N_141elementwise_kernel_with_index_grid_strideIlZZZN2at6native17linspace_cuda_outERKN3c106ScalarES6_lRNS1_6TensorEENKUlvE_clEvENKUlvE0_clEvEUllE_EEvT_T0_PN15function_traitsISD_E11result_typeE.num_vgpr, 56
	.set _ZN12_GLOBAL__N_141elementwise_kernel_with_index_grid_strideIlZZZN2at6native17linspace_cuda_outERKN3c106ScalarES6_lRNS1_6TensorEENKUlvE_clEvENKUlvE0_clEvEUllE_EEvT_T0_PN15function_traitsISD_E11result_typeE.num_agpr, 0
	.set _ZN12_GLOBAL__N_141elementwise_kernel_with_index_grid_strideIlZZZN2at6native17linspace_cuda_outERKN3c106ScalarES6_lRNS1_6TensorEENKUlvE_clEvENKUlvE0_clEvEUllE_EEvT_T0_PN15function_traitsISD_E11result_typeE.numbered_sgpr, 51
	.set _ZN12_GLOBAL__N_141elementwise_kernel_with_index_grid_strideIlZZZN2at6native17linspace_cuda_outERKN3c106ScalarES6_lRNS1_6TensorEENKUlvE_clEvENKUlvE0_clEvEUllE_EEvT_T0_PN15function_traitsISD_E11result_typeE.num_named_barrier, 0
	.set _ZN12_GLOBAL__N_141elementwise_kernel_with_index_grid_strideIlZZZN2at6native17linspace_cuda_outERKN3c106ScalarES6_lRNS1_6TensorEENKUlvE_clEvENKUlvE0_clEvEUllE_EEvT_T0_PN15function_traitsISD_E11result_typeE.private_seg_size, 0
	.set _ZN12_GLOBAL__N_141elementwise_kernel_with_index_grid_strideIlZZZN2at6native17linspace_cuda_outERKN3c106ScalarES6_lRNS1_6TensorEENKUlvE_clEvENKUlvE0_clEvEUllE_EEvT_T0_PN15function_traitsISD_E11result_typeE.uses_vcc, 1
	.set _ZN12_GLOBAL__N_141elementwise_kernel_with_index_grid_strideIlZZZN2at6native17linspace_cuda_outERKN3c106ScalarES6_lRNS1_6TensorEENKUlvE_clEvENKUlvE0_clEvEUllE_EEvT_T0_PN15function_traitsISD_E11result_typeE.uses_flat_scratch, 0
	.set _ZN12_GLOBAL__N_141elementwise_kernel_with_index_grid_strideIlZZZN2at6native17linspace_cuda_outERKN3c106ScalarES6_lRNS1_6TensorEENKUlvE_clEvENKUlvE0_clEvEUllE_EEvT_T0_PN15function_traitsISD_E11result_typeE.has_dyn_sized_stack, 0
	.set _ZN12_GLOBAL__N_141elementwise_kernel_with_index_grid_strideIlZZZN2at6native17linspace_cuda_outERKN3c106ScalarES6_lRNS1_6TensorEENKUlvE_clEvENKUlvE0_clEvEUllE_EEvT_T0_PN15function_traitsISD_E11result_typeE.has_recursion, 0
	.set _ZN12_GLOBAL__N_141elementwise_kernel_with_index_grid_strideIlZZZN2at6native17linspace_cuda_outERKN3c106ScalarES6_lRNS1_6TensorEENKUlvE_clEvENKUlvE0_clEvEUllE_EEvT_T0_PN15function_traitsISD_E11result_typeE.has_indirect_call, 0
	.section	.AMDGPU.csdata,"",@progbits
; Kernel info:
; codeLenInByte = 2480
; TotalNumSgprs: 53
; NumVgprs: 56
; ScratchSize: 0
; MemoryBound: 0
; FloatMode: 240
; IeeeMode: 1
; LDSByteSize: 0 bytes/workgroup (compile time only)
; SGPRBlocks: 0
; VGPRBlocks: 6
; NumSGPRsForWavesPerEU: 53
; NumVGPRsForWavesPerEU: 56
; Occupancy: 16
; WaveLimiterHint : 0
; COMPUTE_PGM_RSRC2:SCRATCH_EN: 0
; COMPUTE_PGM_RSRC2:USER_SGPR: 6
; COMPUTE_PGM_RSRC2:TRAP_HANDLER: 0
; COMPUTE_PGM_RSRC2:TGID_X_EN: 1
; COMPUTE_PGM_RSRC2:TGID_Y_EN: 0
; COMPUTE_PGM_RSRC2:TGID_Z_EN: 0
; COMPUTE_PGM_RSRC2:TIDIG_COMP_CNT: 0
	.section	.text._ZN12_GLOBAL__N_141elementwise_kernel_with_index_grid_strideIiZZZN2at6native17linspace_cuda_outERKN3c106ScalarES6_lRNS1_6TensorEENKUlvE_clEvENKUlvE1_clEvEUllE_EEvT_T0_PN15function_traitsISD_E11result_typeE,"axG",@progbits,_ZN12_GLOBAL__N_141elementwise_kernel_with_index_grid_strideIiZZZN2at6native17linspace_cuda_outERKN3c106ScalarES6_lRNS1_6TensorEENKUlvE_clEvENKUlvE1_clEvEUllE_EEvT_T0_PN15function_traitsISD_E11result_typeE,comdat
	.globl	_ZN12_GLOBAL__N_141elementwise_kernel_with_index_grid_strideIiZZZN2at6native17linspace_cuda_outERKN3c106ScalarES6_lRNS1_6TensorEENKUlvE_clEvENKUlvE1_clEvEUllE_EEvT_T0_PN15function_traitsISD_E11result_typeE ; -- Begin function _ZN12_GLOBAL__N_141elementwise_kernel_with_index_grid_strideIiZZZN2at6native17linspace_cuda_outERKN3c106ScalarES6_lRNS1_6TensorEENKUlvE_clEvENKUlvE1_clEvEUllE_EEvT_T0_PN15function_traitsISD_E11result_typeE
	.p2align	8
	.type	_ZN12_GLOBAL__N_141elementwise_kernel_with_index_grid_strideIiZZZN2at6native17linspace_cuda_outERKN3c106ScalarES6_lRNS1_6TensorEENKUlvE_clEvENKUlvE1_clEvEUllE_EEvT_T0_PN15function_traitsISD_E11result_typeE,@function
_ZN12_GLOBAL__N_141elementwise_kernel_with_index_grid_strideIiZZZN2at6native17linspace_cuda_outERKN3c106ScalarES6_lRNS1_6TensorEENKUlvE_clEvENKUlvE1_clEvEUllE_EEvT_T0_PN15function_traitsISD_E11result_typeE: ; @_ZN12_GLOBAL__N_141elementwise_kernel_with_index_grid_strideIiZZZN2at6native17linspace_cuda_outERKN3c106ScalarES6_lRNS1_6TensorEENKUlvE_clEvENKUlvE1_clEvEUllE_EEvT_T0_PN15function_traitsISD_E11result_typeE
; %bb.0:
	s_clause 0x1
	s_load_dword s2, s[4:5], 0x3c
	s_load_dword s7, s[4:5], 0x0
	s_add_u32 s0, s4, 48
	s_addc_u32 s1, s5, 0
	s_mov_b32 s3, exec_lo
	s_waitcnt lgkmcnt(0)
	s_and_b32 s2, s2, 0xffff
	v_mad_u64_u32 v[0:1], null, s6, s2, v[0:1]
	v_cmpx_gt_i32_e64 s7, v0
	s_cbranch_execz .LBB4_7
; %bb.1:
	s_load_dword s0, s[0:1], 0x0
	s_clause 0x2
	s_load_dwordx4 s[12:15], s[4:5], 0x8
	s_load_dwordx4 s[8:11], s[4:5], 0x20
	s_load_dword s1, s[4:5], 0x18
	v_ashrrev_i32_e32 v1, 31, v0
	v_not_b32_e32 v2, v0
	s_mov_b32 s6, 0
	v_lshlrev_b64 v[4:5], 2, v[0:1]
	v_not_b32_e32 v3, v1
	s_waitcnt lgkmcnt(0)
	s_mul_i32 s2, s0, s2
	v_add_co_u32 v2, vcc_lo, v2, s14
	v_add_co_ci_u32_e64 v3, null, s15, v3, vcc_lo
	v_add_co_u32 v4, vcc_lo, s10, v4
	v_cvt_f32_i32_e32 v6, s13
	v_cvt_f32_i32_e32 v7, s12
	v_add_co_ci_u32_e64 v5, null, s11, v5, vcc_lo
	s_ashr_i32 s3, s2, 31
	s_lshl_b64 s[4:5], s[2:3], 2
	s_inst_prefetch 0x1
	s_branch .LBB4_3
	.p2align	6
.LBB4_2:                                ;   in Loop: Header=BB4_3 Depth=1
	s_or_b32 exec_lo, exec_lo, s0
	v_cvt_i32_f32_e32 v8, v8
	v_add_co_u32 v0, vcc_lo, v0, s2
	v_add_co_ci_u32_e64 v1, null, s3, v1, vcc_lo
	v_sub_co_u32 v2, vcc_lo, v2, s2
	global_store_dword v[4:5], v8, off
	v_subrev_co_ci_u32_e64 v3, null, s3, v3, vcc_lo
	v_cmp_le_i32_e32 vcc_lo, s7, v0
	v_add_co_u32 v4, s0, v4, s4
	v_add_co_ci_u32_e64 v5, null, s5, v5, s0
	s_or_b32 s6, vcc_lo, s6
	s_andn2_b32 exec_lo, exec_lo, s6
	s_cbranch_execz .LBB4_7
.LBB4_3:                                ; =>This Inner Loop Header: Depth=1
	s_mov_b32 s0, exec_lo
                                        ; implicit-def: $vgpr8
	v_cmpx_le_i64_e64 s[8:9], v[0:1]
	s_xor_b32 s0, exec_lo, s0
	s_cbranch_execz .LBB4_5
; %bb.4:                                ;   in Loop: Header=BB4_3 Depth=1
	v_xor_b32_e32 v8, v2, v3
	v_ffbh_i32_e32 v9, v3
	v_ashrrev_i32_e32 v8, 31, v8
	v_add_nc_u32_e32 v9, -1, v9
	v_add_nc_u32_e32 v8, 32, v8
	v_min_u32_e32 v10, v9, v8
	v_lshlrev_b64 v[8:9], v10, v[2:3]
	v_min_u32_e32 v8, 1, v8
	v_or_b32_e32 v8, v9, v8
	v_sub_nc_u32_e32 v9, 32, v10
	v_cvt_f32_i32_e32 v8, v8
	v_ldexp_f32 v8, v8, v9
	v_fma_f32 v8, -s1, v8, v6
.LBB4_5:                                ;   in Loop: Header=BB4_3 Depth=1
	s_andn2_saveexec_b32 s0, s0
	s_cbranch_execz .LBB4_2
; %bb.6:                                ;   in Loop: Header=BB4_3 Depth=1
	v_cvt_f32_i32_e32 v8, v0
	v_fma_f32 v8, s1, v8, v7
	s_branch .LBB4_2
.LBB4_7:
	s_inst_prefetch 0x2
	s_endpgm
	.section	.rodata,"a",@progbits
	.p2align	6, 0x0
	.amdhsa_kernel _ZN12_GLOBAL__N_141elementwise_kernel_with_index_grid_strideIiZZZN2at6native17linspace_cuda_outERKN3c106ScalarES6_lRNS1_6TensorEENKUlvE_clEvENKUlvE1_clEvEUllE_EEvT_T0_PN15function_traitsISD_E11result_typeE
		.amdhsa_group_segment_fixed_size 0
		.amdhsa_private_segment_fixed_size 0
		.amdhsa_kernarg_size 304
		.amdhsa_user_sgpr_count 6
		.amdhsa_user_sgpr_private_segment_buffer 1
		.amdhsa_user_sgpr_dispatch_ptr 0
		.amdhsa_user_sgpr_queue_ptr 0
		.amdhsa_user_sgpr_kernarg_segment_ptr 1
		.amdhsa_user_sgpr_dispatch_id 0
		.amdhsa_user_sgpr_flat_scratch_init 0
		.amdhsa_user_sgpr_private_segment_size 0
		.amdhsa_wavefront_size32 1
		.amdhsa_uses_dynamic_stack 0
		.amdhsa_system_sgpr_private_segment_wavefront_offset 0
		.amdhsa_system_sgpr_workgroup_id_x 1
		.amdhsa_system_sgpr_workgroup_id_y 0
		.amdhsa_system_sgpr_workgroup_id_z 0
		.amdhsa_system_sgpr_workgroup_info 0
		.amdhsa_system_vgpr_workitem_id 0
		.amdhsa_next_free_vgpr 11
		.amdhsa_next_free_sgpr 16
		.amdhsa_reserve_vcc 1
		.amdhsa_reserve_flat_scratch 0
		.amdhsa_float_round_mode_32 0
		.amdhsa_float_round_mode_16_64 0
		.amdhsa_float_denorm_mode_32 3
		.amdhsa_float_denorm_mode_16_64 3
		.amdhsa_dx10_clamp 1
		.amdhsa_ieee_mode 1
		.amdhsa_fp16_overflow 0
		.amdhsa_workgroup_processor_mode 1
		.amdhsa_memory_ordered 1
		.amdhsa_forward_progress 1
		.amdhsa_shared_vgpr_count 0
		.amdhsa_exception_fp_ieee_invalid_op 0
		.amdhsa_exception_fp_denorm_src 0
		.amdhsa_exception_fp_ieee_div_zero 0
		.amdhsa_exception_fp_ieee_overflow 0
		.amdhsa_exception_fp_ieee_underflow 0
		.amdhsa_exception_fp_ieee_inexact 0
		.amdhsa_exception_int_div_zero 0
	.end_amdhsa_kernel
	.section	.text._ZN12_GLOBAL__N_141elementwise_kernel_with_index_grid_strideIiZZZN2at6native17linspace_cuda_outERKN3c106ScalarES6_lRNS1_6TensorEENKUlvE_clEvENKUlvE1_clEvEUllE_EEvT_T0_PN15function_traitsISD_E11result_typeE,"axG",@progbits,_ZN12_GLOBAL__N_141elementwise_kernel_with_index_grid_strideIiZZZN2at6native17linspace_cuda_outERKN3c106ScalarES6_lRNS1_6TensorEENKUlvE_clEvENKUlvE1_clEvEUllE_EEvT_T0_PN15function_traitsISD_E11result_typeE,comdat
.Lfunc_end4:
	.size	_ZN12_GLOBAL__N_141elementwise_kernel_with_index_grid_strideIiZZZN2at6native17linspace_cuda_outERKN3c106ScalarES6_lRNS1_6TensorEENKUlvE_clEvENKUlvE1_clEvEUllE_EEvT_T0_PN15function_traitsISD_E11result_typeE, .Lfunc_end4-_ZN12_GLOBAL__N_141elementwise_kernel_with_index_grid_strideIiZZZN2at6native17linspace_cuda_outERKN3c106ScalarES6_lRNS1_6TensorEENKUlvE_clEvENKUlvE1_clEvEUllE_EEvT_T0_PN15function_traitsISD_E11result_typeE
                                        ; -- End function
	.set _ZN12_GLOBAL__N_141elementwise_kernel_with_index_grid_strideIiZZZN2at6native17linspace_cuda_outERKN3c106ScalarES6_lRNS1_6TensorEENKUlvE_clEvENKUlvE1_clEvEUllE_EEvT_T0_PN15function_traitsISD_E11result_typeE.num_vgpr, 11
	.set _ZN12_GLOBAL__N_141elementwise_kernel_with_index_grid_strideIiZZZN2at6native17linspace_cuda_outERKN3c106ScalarES6_lRNS1_6TensorEENKUlvE_clEvENKUlvE1_clEvEUllE_EEvT_T0_PN15function_traitsISD_E11result_typeE.num_agpr, 0
	.set _ZN12_GLOBAL__N_141elementwise_kernel_with_index_grid_strideIiZZZN2at6native17linspace_cuda_outERKN3c106ScalarES6_lRNS1_6TensorEENKUlvE_clEvENKUlvE1_clEvEUllE_EEvT_T0_PN15function_traitsISD_E11result_typeE.numbered_sgpr, 16
	.set _ZN12_GLOBAL__N_141elementwise_kernel_with_index_grid_strideIiZZZN2at6native17linspace_cuda_outERKN3c106ScalarES6_lRNS1_6TensorEENKUlvE_clEvENKUlvE1_clEvEUllE_EEvT_T0_PN15function_traitsISD_E11result_typeE.num_named_barrier, 0
	.set _ZN12_GLOBAL__N_141elementwise_kernel_with_index_grid_strideIiZZZN2at6native17linspace_cuda_outERKN3c106ScalarES6_lRNS1_6TensorEENKUlvE_clEvENKUlvE1_clEvEUllE_EEvT_T0_PN15function_traitsISD_E11result_typeE.private_seg_size, 0
	.set _ZN12_GLOBAL__N_141elementwise_kernel_with_index_grid_strideIiZZZN2at6native17linspace_cuda_outERKN3c106ScalarES6_lRNS1_6TensorEENKUlvE_clEvENKUlvE1_clEvEUllE_EEvT_T0_PN15function_traitsISD_E11result_typeE.uses_vcc, 1
	.set _ZN12_GLOBAL__N_141elementwise_kernel_with_index_grid_strideIiZZZN2at6native17linspace_cuda_outERKN3c106ScalarES6_lRNS1_6TensorEENKUlvE_clEvENKUlvE1_clEvEUllE_EEvT_T0_PN15function_traitsISD_E11result_typeE.uses_flat_scratch, 0
	.set _ZN12_GLOBAL__N_141elementwise_kernel_with_index_grid_strideIiZZZN2at6native17linspace_cuda_outERKN3c106ScalarES6_lRNS1_6TensorEENKUlvE_clEvENKUlvE1_clEvEUllE_EEvT_T0_PN15function_traitsISD_E11result_typeE.has_dyn_sized_stack, 0
	.set _ZN12_GLOBAL__N_141elementwise_kernel_with_index_grid_strideIiZZZN2at6native17linspace_cuda_outERKN3c106ScalarES6_lRNS1_6TensorEENKUlvE_clEvENKUlvE1_clEvEUllE_EEvT_T0_PN15function_traitsISD_E11result_typeE.has_recursion, 0
	.set _ZN12_GLOBAL__N_141elementwise_kernel_with_index_grid_strideIiZZZN2at6native17linspace_cuda_outERKN3c106ScalarES6_lRNS1_6TensorEENKUlvE_clEvENKUlvE1_clEvEUllE_EEvT_T0_PN15function_traitsISD_E11result_typeE.has_indirect_call, 0
	.section	.AMDGPU.csdata,"",@progbits
; Kernel info:
; codeLenInByte = 388
; TotalNumSgprs: 18
; NumVgprs: 11
; ScratchSize: 0
; MemoryBound: 0
; FloatMode: 240
; IeeeMode: 1
; LDSByteSize: 0 bytes/workgroup (compile time only)
; SGPRBlocks: 0
; VGPRBlocks: 1
; NumSGPRsForWavesPerEU: 18
; NumVGPRsForWavesPerEU: 11
; Occupancy: 16
; WaveLimiterHint : 0
; COMPUTE_PGM_RSRC2:SCRATCH_EN: 0
; COMPUTE_PGM_RSRC2:USER_SGPR: 6
; COMPUTE_PGM_RSRC2:TRAP_HANDLER: 0
; COMPUTE_PGM_RSRC2:TGID_X_EN: 1
; COMPUTE_PGM_RSRC2:TGID_Y_EN: 0
; COMPUTE_PGM_RSRC2:TGID_Z_EN: 0
; COMPUTE_PGM_RSRC2:TIDIG_COMP_CNT: 0
	.section	.text._ZN12_GLOBAL__N_141elementwise_kernel_with_index_grid_strideIlZZZN2at6native17linspace_cuda_outERKN3c106ScalarES6_lRNS1_6TensorEENKUlvE_clEvENKUlvE1_clEvEUllE_EEvT_T0_PN15function_traitsISD_E11result_typeE,"axG",@progbits,_ZN12_GLOBAL__N_141elementwise_kernel_with_index_grid_strideIlZZZN2at6native17linspace_cuda_outERKN3c106ScalarES6_lRNS1_6TensorEENKUlvE_clEvENKUlvE1_clEvEUllE_EEvT_T0_PN15function_traitsISD_E11result_typeE,comdat
	.globl	_ZN12_GLOBAL__N_141elementwise_kernel_with_index_grid_strideIlZZZN2at6native17linspace_cuda_outERKN3c106ScalarES6_lRNS1_6TensorEENKUlvE_clEvENKUlvE1_clEvEUllE_EEvT_T0_PN15function_traitsISD_E11result_typeE ; -- Begin function _ZN12_GLOBAL__N_141elementwise_kernel_with_index_grid_strideIlZZZN2at6native17linspace_cuda_outERKN3c106ScalarES6_lRNS1_6TensorEENKUlvE_clEvENKUlvE1_clEvEUllE_EEvT_T0_PN15function_traitsISD_E11result_typeE
	.p2align	8
	.type	_ZN12_GLOBAL__N_141elementwise_kernel_with_index_grid_strideIlZZZN2at6native17linspace_cuda_outERKN3c106ScalarES6_lRNS1_6TensorEENKUlvE_clEvENKUlvE1_clEvEUllE_EEvT_T0_PN15function_traitsISD_E11result_typeE,@function
_ZN12_GLOBAL__N_141elementwise_kernel_with_index_grid_strideIlZZZN2at6native17linspace_cuda_outERKN3c106ScalarES6_lRNS1_6TensorEENKUlvE_clEvENKUlvE1_clEvEUllE_EEvT_T0_PN15function_traitsISD_E11result_typeE: ; @_ZN12_GLOBAL__N_141elementwise_kernel_with_index_grid_strideIlZZZN2at6native17linspace_cuda_outERKN3c106ScalarES6_lRNS1_6TensorEENKUlvE_clEvENKUlvE1_clEvEUllE_EEvT_T0_PN15function_traitsISD_E11result_typeE
; %bb.0:
	s_clause 0x1
	s_load_dword s7, s[4:5], 0x3c
	s_load_dwordx2 s[2:3], s[4:5], 0x0
	v_mov_b32_e32 v1, 0
	s_add_u32 s0, s4, 48
	s_addc_u32 s1, s5, 0
	s_waitcnt lgkmcnt(0)
	s_and_b32 s7, s7, 0xffff
	v_mad_u64_u32 v[0:1], null, s7, s6, v[0:1]
	s_mov_b32 s6, exec_lo
	v_cmpx_gt_i64_e64 s[2:3], v[0:1]
	s_cbranch_execz .LBB5_7
; %bb.1:
	s_load_dword s0, s[0:1], 0x0
	s_clause 0x2
	s_load_dwordx4 s[12:15], s[4:5], 0x8
	s_load_dwordx4 s[8:11], s[4:5], 0x20
	s_load_dword s1, s[4:5], 0x18
	v_not_b32_e32 v2, v0
	v_lshlrev_b64 v[4:5], 2, v[0:1]
	v_not_b32_e32 v3, v1
	s_waitcnt lgkmcnt(0)
	s_mul_hi_u32 s5, s7, s0
	v_add_co_u32 v2, vcc_lo, v2, s14
	v_add_co_ci_u32_e64 v3, null, s15, v3, vcc_lo
	v_add_co_u32 v4, vcc_lo, s10, v4
	v_cvt_f32_i32_e32 v6, s13
	v_cvt_f32_i32_e32 v7, s12
	v_add_co_ci_u32_e64 v5, null, s11, v5, vcc_lo
	s_mul_i32 s4, s7, s0
	s_mov_b32 s10, 0
	s_lshl_b64 s[6:7], s[4:5], 2
	s_branch .LBB5_3
.LBB5_2:                                ;   in Loop: Header=BB5_3 Depth=1
	s_or_b32 exec_lo, exec_lo, s0
	v_add_co_u32 v0, vcc_lo, v0, s4
	v_add_co_ci_u32_e64 v1, null, s5, v1, vcc_lo
	v_cvt_i32_f32_e32 v8, v8
	v_sub_co_u32 v2, vcc_lo, v2, s4
	v_subrev_co_ci_u32_e64 v3, null, s5, v3, vcc_lo
	v_cmp_le_i64_e32 vcc_lo, s[2:3], v[0:1]
	global_store_dword v[4:5], v8, off
	v_add_co_u32 v4, s0, v4, s6
	v_add_co_ci_u32_e64 v5, null, s7, v5, s0
	s_or_b32 s10, vcc_lo, s10
	s_andn2_b32 exec_lo, exec_lo, s10
	s_cbranch_execz .LBB5_7
.LBB5_3:                                ; =>This Inner Loop Header: Depth=1
	s_mov_b32 s0, exec_lo
                                        ; implicit-def: $vgpr8
	v_cmpx_le_i64_e64 s[8:9], v[0:1]
	s_xor_b32 s0, exec_lo, s0
	s_cbranch_execz .LBB5_5
; %bb.4:                                ;   in Loop: Header=BB5_3 Depth=1
	v_xor_b32_e32 v8, v2, v3
	v_ffbh_i32_e32 v9, v3
	v_ashrrev_i32_e32 v8, 31, v8
	v_add_nc_u32_e32 v9, -1, v9
	v_add_nc_u32_e32 v8, 32, v8
	v_min_u32_e32 v10, v9, v8
	v_lshlrev_b64 v[8:9], v10, v[2:3]
	v_min_u32_e32 v8, 1, v8
	v_or_b32_e32 v8, v9, v8
	v_sub_nc_u32_e32 v9, 32, v10
	v_cvt_f32_i32_e32 v8, v8
	v_ldexp_f32 v8, v8, v9
	v_fma_f32 v8, -s1, v8, v6
.LBB5_5:                                ;   in Loop: Header=BB5_3 Depth=1
	s_andn2_saveexec_b32 s0, s0
	s_cbranch_execz .LBB5_2
; %bb.6:                                ;   in Loop: Header=BB5_3 Depth=1
	v_ffbh_u32_e32 v8, v1
	v_min_u32_e32 v10, 32, v8
	v_lshlrev_b64 v[8:9], v10, v[0:1]
	v_min_u32_e32 v8, 1, v8
	v_or_b32_e32 v8, v9, v8
	v_sub_nc_u32_e32 v9, 32, v10
	v_cvt_f32_u32_e32 v8, v8
	v_ldexp_f32 v8, v8, v9
	v_fma_f32 v8, s1, v8, v7
	s_branch .LBB5_2
.LBB5_7:
	s_endpgm
	.section	.rodata,"a",@progbits
	.p2align	6, 0x0
	.amdhsa_kernel _ZN12_GLOBAL__N_141elementwise_kernel_with_index_grid_strideIlZZZN2at6native17linspace_cuda_outERKN3c106ScalarES6_lRNS1_6TensorEENKUlvE_clEvENKUlvE1_clEvEUllE_EEvT_T0_PN15function_traitsISD_E11result_typeE
		.amdhsa_group_segment_fixed_size 0
		.amdhsa_private_segment_fixed_size 0
		.amdhsa_kernarg_size 304
		.amdhsa_user_sgpr_count 6
		.amdhsa_user_sgpr_private_segment_buffer 1
		.amdhsa_user_sgpr_dispatch_ptr 0
		.amdhsa_user_sgpr_queue_ptr 0
		.amdhsa_user_sgpr_kernarg_segment_ptr 1
		.amdhsa_user_sgpr_dispatch_id 0
		.amdhsa_user_sgpr_flat_scratch_init 0
		.amdhsa_user_sgpr_private_segment_size 0
		.amdhsa_wavefront_size32 1
		.amdhsa_uses_dynamic_stack 0
		.amdhsa_system_sgpr_private_segment_wavefront_offset 0
		.amdhsa_system_sgpr_workgroup_id_x 1
		.amdhsa_system_sgpr_workgroup_id_y 0
		.amdhsa_system_sgpr_workgroup_id_z 0
		.amdhsa_system_sgpr_workgroup_info 0
		.amdhsa_system_vgpr_workitem_id 0
		.amdhsa_next_free_vgpr 11
		.amdhsa_next_free_sgpr 16
		.amdhsa_reserve_vcc 1
		.amdhsa_reserve_flat_scratch 0
		.amdhsa_float_round_mode_32 0
		.amdhsa_float_round_mode_16_64 0
		.amdhsa_float_denorm_mode_32 3
		.amdhsa_float_denorm_mode_16_64 3
		.amdhsa_dx10_clamp 1
		.amdhsa_ieee_mode 1
		.amdhsa_fp16_overflow 0
		.amdhsa_workgroup_processor_mode 1
		.amdhsa_memory_ordered 1
		.amdhsa_forward_progress 1
		.amdhsa_shared_vgpr_count 0
		.amdhsa_exception_fp_ieee_invalid_op 0
		.amdhsa_exception_fp_denorm_src 0
		.amdhsa_exception_fp_ieee_div_zero 0
		.amdhsa_exception_fp_ieee_overflow 0
		.amdhsa_exception_fp_ieee_underflow 0
		.amdhsa_exception_fp_ieee_inexact 0
		.amdhsa_exception_int_div_zero 0
	.end_amdhsa_kernel
	.section	.text._ZN12_GLOBAL__N_141elementwise_kernel_with_index_grid_strideIlZZZN2at6native17linspace_cuda_outERKN3c106ScalarES6_lRNS1_6TensorEENKUlvE_clEvENKUlvE1_clEvEUllE_EEvT_T0_PN15function_traitsISD_E11result_typeE,"axG",@progbits,_ZN12_GLOBAL__N_141elementwise_kernel_with_index_grid_strideIlZZZN2at6native17linspace_cuda_outERKN3c106ScalarES6_lRNS1_6TensorEENKUlvE_clEvENKUlvE1_clEvEUllE_EEvT_T0_PN15function_traitsISD_E11result_typeE,comdat
.Lfunc_end5:
	.size	_ZN12_GLOBAL__N_141elementwise_kernel_with_index_grid_strideIlZZZN2at6native17linspace_cuda_outERKN3c106ScalarES6_lRNS1_6TensorEENKUlvE_clEvENKUlvE1_clEvEUllE_EEvT_T0_PN15function_traitsISD_E11result_typeE, .Lfunc_end5-_ZN12_GLOBAL__N_141elementwise_kernel_with_index_grid_strideIlZZZN2at6native17linspace_cuda_outERKN3c106ScalarES6_lRNS1_6TensorEENKUlvE_clEvENKUlvE1_clEvEUllE_EEvT_T0_PN15function_traitsISD_E11result_typeE
                                        ; -- End function
	.set _ZN12_GLOBAL__N_141elementwise_kernel_with_index_grid_strideIlZZZN2at6native17linspace_cuda_outERKN3c106ScalarES6_lRNS1_6TensorEENKUlvE_clEvENKUlvE1_clEvEUllE_EEvT_T0_PN15function_traitsISD_E11result_typeE.num_vgpr, 11
	.set _ZN12_GLOBAL__N_141elementwise_kernel_with_index_grid_strideIlZZZN2at6native17linspace_cuda_outERKN3c106ScalarES6_lRNS1_6TensorEENKUlvE_clEvENKUlvE1_clEvEUllE_EEvT_T0_PN15function_traitsISD_E11result_typeE.num_agpr, 0
	.set _ZN12_GLOBAL__N_141elementwise_kernel_with_index_grid_strideIlZZZN2at6native17linspace_cuda_outERKN3c106ScalarES6_lRNS1_6TensorEENKUlvE_clEvENKUlvE1_clEvEUllE_EEvT_T0_PN15function_traitsISD_E11result_typeE.numbered_sgpr, 16
	.set _ZN12_GLOBAL__N_141elementwise_kernel_with_index_grid_strideIlZZZN2at6native17linspace_cuda_outERKN3c106ScalarES6_lRNS1_6TensorEENKUlvE_clEvENKUlvE1_clEvEUllE_EEvT_T0_PN15function_traitsISD_E11result_typeE.num_named_barrier, 0
	.set _ZN12_GLOBAL__N_141elementwise_kernel_with_index_grid_strideIlZZZN2at6native17linspace_cuda_outERKN3c106ScalarES6_lRNS1_6TensorEENKUlvE_clEvENKUlvE1_clEvEUllE_EEvT_T0_PN15function_traitsISD_E11result_typeE.private_seg_size, 0
	.set _ZN12_GLOBAL__N_141elementwise_kernel_with_index_grid_strideIlZZZN2at6native17linspace_cuda_outERKN3c106ScalarES6_lRNS1_6TensorEENKUlvE_clEvENKUlvE1_clEvEUllE_EEvT_T0_PN15function_traitsISD_E11result_typeE.uses_vcc, 1
	.set _ZN12_GLOBAL__N_141elementwise_kernel_with_index_grid_strideIlZZZN2at6native17linspace_cuda_outERKN3c106ScalarES6_lRNS1_6TensorEENKUlvE_clEvENKUlvE1_clEvEUllE_EEvT_T0_PN15function_traitsISD_E11result_typeE.uses_flat_scratch, 0
	.set _ZN12_GLOBAL__N_141elementwise_kernel_with_index_grid_strideIlZZZN2at6native17linspace_cuda_outERKN3c106ScalarES6_lRNS1_6TensorEENKUlvE_clEvENKUlvE1_clEvEUllE_EEvT_T0_PN15function_traitsISD_E11result_typeE.has_dyn_sized_stack, 0
	.set _ZN12_GLOBAL__N_141elementwise_kernel_with_index_grid_strideIlZZZN2at6native17linspace_cuda_outERKN3c106ScalarES6_lRNS1_6TensorEENKUlvE_clEvENKUlvE1_clEvEUllE_EEvT_T0_PN15function_traitsISD_E11result_typeE.has_recursion, 0
	.set _ZN12_GLOBAL__N_141elementwise_kernel_with_index_grid_strideIlZZZN2at6native17linspace_cuda_outERKN3c106ScalarES6_lRNS1_6TensorEENKUlvE_clEvENKUlvE1_clEvEUllE_EEvT_T0_PN15function_traitsISD_E11result_typeE.has_indirect_call, 0
	.section	.AMDGPU.csdata,"",@progbits
; Kernel info:
; codeLenInByte = 412
; TotalNumSgprs: 18
; NumVgprs: 11
; ScratchSize: 0
; MemoryBound: 0
; FloatMode: 240
; IeeeMode: 1
; LDSByteSize: 0 bytes/workgroup (compile time only)
; SGPRBlocks: 0
; VGPRBlocks: 1
; NumSGPRsForWavesPerEU: 18
; NumVGPRsForWavesPerEU: 11
; Occupancy: 16
; WaveLimiterHint : 0
; COMPUTE_PGM_RSRC2:SCRATCH_EN: 0
; COMPUTE_PGM_RSRC2:USER_SGPR: 6
; COMPUTE_PGM_RSRC2:TRAP_HANDLER: 0
; COMPUTE_PGM_RSRC2:TGID_X_EN: 1
; COMPUTE_PGM_RSRC2:TGID_Y_EN: 0
; COMPUTE_PGM_RSRC2:TGID_Z_EN: 0
; COMPUTE_PGM_RSRC2:TIDIG_COMP_CNT: 0
	.section	.text._ZN12_GLOBAL__N_141elementwise_kernel_with_index_grid_strideIiZZZN2at6native17linspace_cuda_outERKN3c106ScalarES6_lRNS1_6TensorEENKUlvE_clEvENKUlvE2_clEvEUllE_EEvT_T0_PN15function_traitsISD_E11result_typeE,"axG",@progbits,_ZN12_GLOBAL__N_141elementwise_kernel_with_index_grid_strideIiZZZN2at6native17linspace_cuda_outERKN3c106ScalarES6_lRNS1_6TensorEENKUlvE_clEvENKUlvE2_clEvEUllE_EEvT_T0_PN15function_traitsISD_E11result_typeE,comdat
	.globl	_ZN12_GLOBAL__N_141elementwise_kernel_with_index_grid_strideIiZZZN2at6native17linspace_cuda_outERKN3c106ScalarES6_lRNS1_6TensorEENKUlvE_clEvENKUlvE2_clEvEUllE_EEvT_T0_PN15function_traitsISD_E11result_typeE ; -- Begin function _ZN12_GLOBAL__N_141elementwise_kernel_with_index_grid_strideIiZZZN2at6native17linspace_cuda_outERKN3c106ScalarES6_lRNS1_6TensorEENKUlvE_clEvENKUlvE2_clEvEUllE_EEvT_T0_PN15function_traitsISD_E11result_typeE
	.p2align	8
	.type	_ZN12_GLOBAL__N_141elementwise_kernel_with_index_grid_strideIiZZZN2at6native17linspace_cuda_outERKN3c106ScalarES6_lRNS1_6TensorEENKUlvE_clEvENKUlvE2_clEvEUllE_EEvT_T0_PN15function_traitsISD_E11result_typeE,@function
_ZN12_GLOBAL__N_141elementwise_kernel_with_index_grid_strideIiZZZN2at6native17linspace_cuda_outERKN3c106ScalarES6_lRNS1_6TensorEENKUlvE_clEvENKUlvE2_clEvEUllE_EEvT_T0_PN15function_traitsISD_E11result_typeE: ; @_ZN12_GLOBAL__N_141elementwise_kernel_with_index_grid_strideIiZZZN2at6native17linspace_cuda_outERKN3c106ScalarES6_lRNS1_6TensorEENKUlvE_clEvENKUlvE2_clEvEUllE_EEvT_T0_PN15function_traitsISD_E11result_typeE
; %bb.0:
	s_clause 0x1
	s_load_dword s2, s[4:5], 0x44
	s_load_dword s10, s[4:5], 0x0
	s_add_u32 s0, s4, 56
	s_addc_u32 s1, s5, 0
	s_waitcnt lgkmcnt(0)
	s_and_b32 s8, s2, 0xffff
	s_mov_b32 s2, exec_lo
	v_mad_u64_u32 v[0:1], null, s6, s8, v[0:1]
	v_cmpx_gt_i32_e64 s10, v0
	s_cbranch_execz .LBB6_7
; %bb.1:
	s_load_dword s9, s[0:1], 0x0
	s_clause 0x1
	s_load_dwordx4 s[0:3], s[4:5], 0x8
	s_load_dwordx2 s[12:13], s[4:5], 0x18
	v_ashrrev_i32_e32 v1, 31, v0
	v_not_b32_e32 v2, v0
	s_clause 0x1
	s_load_dword s11, s[4:5], 0x20
	s_load_dwordx4 s[4:7], s[4:5], 0x28
	v_not_b32_e32 v3, v1
	v_lshlrev_b64 v[4:5], 3, v[0:1]
	s_waitcnt lgkmcnt(0)
	s_mul_i32 s8, s9, s8
	s_xor_b32 s14, s2, s3
	s_xor_b32 s16, s0, s1
	v_add_co_u32 v2, vcc_lo, v2, s12
	s_flbit_i32 s9, s3
	s_flbit_i32 s15, s1
	v_add_co_ci_u32_e64 v3, null, s13, v3, vcc_lo
	s_ashr_i32 s12, s14, 31
	s_ashr_i32 s13, s16, 31
	s_add_i32 s9, s9, -1
	s_add_i32 s15, s15, -1
	s_add_i32 s12, s12, 32
	s_add_i32 s13, s13, 32
	s_min_u32 s12, s9, s12
	s_min_u32 s13, s15, s13
	s_lshl_b64 s[2:3], s[2:3], s12
	s_lshl_b64 s[0:1], s[0:1], s13
	s_min_u32 s2, s2, 1
	s_min_u32 s0, s0, 1
	s_or_b32 s2, s3, s2
	s_or_b32 s0, s1, s0
	v_cvt_f32_i32_e32 v6, s2
	v_cvt_f32_i32_e32 v7, s0
	s_sub_i32 s0, 32, s12
	s_sub_i32 s1, 32, s13
	v_add_co_u32 v4, vcc_lo, s6, v4
	v_ldexp_f32 v6, v6, s0
	v_ldexp_f32 v7, v7, s1
	v_add_co_ci_u32_e64 v5, null, s7, v5, vcc_lo
	s_ashr_i32 s9, s8, 31
	s_mov_b32 s1, 0
	s_lshl_b64 s[2:3], s[8:9], 3
	s_branch .LBB6_3
.LBB6_2:                                ;   in Loop: Header=BB6_3 Depth=1
	s_or_b32 exec_lo, exec_lo, s0
	v_trunc_f32_e32 v8, v8
	v_add_co_u32 v0, vcc_lo, v0, s8
	v_add_co_ci_u32_e64 v1, null, s9, v1, vcc_lo
	v_mul_f32_e64 v9, 0x2f800000, |v8|
	v_ashrrev_i32_e32 v11, 31, v8
	v_floor_f32_e32 v9, v9
	v_fma_f32 v10, 0xcf800000, v9, |v8|
	v_cvt_u32_f32_e32 v8, v9
	v_cvt_u32_f32_e32 v9, v10
	v_xor_b32_e32 v10, v8, v11
	v_xor_b32_e32 v8, v9, v11
	v_sub_co_u32 v8, vcc_lo, v8, v11
	v_sub_co_ci_u32_e64 v9, null, v10, v11, vcc_lo
	v_sub_co_u32 v2, vcc_lo, v2, s8
	v_subrev_co_ci_u32_e64 v3, null, s9, v3, vcc_lo
	v_cmp_le_i32_e32 vcc_lo, s10, v0
	global_store_dwordx2 v[4:5], v[8:9], off
	v_add_co_u32 v4, s0, v4, s2
	v_add_co_ci_u32_e64 v5, null, s3, v5, s0
	s_or_b32 s1, vcc_lo, s1
	s_andn2_b32 exec_lo, exec_lo, s1
	s_cbranch_execz .LBB6_7
.LBB6_3:                                ; =>This Inner Loop Header: Depth=1
	s_mov_b32 s0, exec_lo
                                        ; implicit-def: $vgpr8
	v_cmpx_le_i64_e64 s[4:5], v[0:1]
	s_xor_b32 s0, exec_lo, s0
	s_cbranch_execz .LBB6_5
; %bb.4:                                ;   in Loop: Header=BB6_3 Depth=1
	v_xor_b32_e32 v8, v2, v3
	v_ffbh_i32_e32 v9, v3
	v_ashrrev_i32_e32 v8, 31, v8
	v_add_nc_u32_e32 v9, -1, v9
	v_add_nc_u32_e32 v8, 32, v8
	v_min_u32_e32 v10, v9, v8
	v_lshlrev_b64 v[8:9], v10, v[2:3]
	v_min_u32_e32 v8, 1, v8
	v_or_b32_e32 v8, v9, v8
	v_sub_nc_u32_e32 v9, 32, v10
	v_cvt_f32_i32_e32 v8, v8
	v_ldexp_f32 v8, v8, v9
	v_fma_f32 v8, -s11, v8, v6
.LBB6_5:                                ;   in Loop: Header=BB6_3 Depth=1
	s_andn2_saveexec_b32 s0, s0
	s_cbranch_execz .LBB6_2
; %bb.6:                                ;   in Loop: Header=BB6_3 Depth=1
	v_cvt_f32_i32_e32 v8, v0
	v_fma_f32 v8, s11, v8, v7
	s_branch .LBB6_2
.LBB6_7:
	s_endpgm
	.section	.rodata,"a",@progbits
	.p2align	6, 0x0
	.amdhsa_kernel _ZN12_GLOBAL__N_141elementwise_kernel_with_index_grid_strideIiZZZN2at6native17linspace_cuda_outERKN3c106ScalarES6_lRNS1_6TensorEENKUlvE_clEvENKUlvE2_clEvEUllE_EEvT_T0_PN15function_traitsISD_E11result_typeE
		.amdhsa_group_segment_fixed_size 0
		.amdhsa_private_segment_fixed_size 0
		.amdhsa_kernarg_size 312
		.amdhsa_user_sgpr_count 6
		.amdhsa_user_sgpr_private_segment_buffer 1
		.amdhsa_user_sgpr_dispatch_ptr 0
		.amdhsa_user_sgpr_queue_ptr 0
		.amdhsa_user_sgpr_kernarg_segment_ptr 1
		.amdhsa_user_sgpr_dispatch_id 0
		.amdhsa_user_sgpr_flat_scratch_init 0
		.amdhsa_user_sgpr_private_segment_size 0
		.amdhsa_wavefront_size32 1
		.amdhsa_uses_dynamic_stack 0
		.amdhsa_system_sgpr_private_segment_wavefront_offset 0
		.amdhsa_system_sgpr_workgroup_id_x 1
		.amdhsa_system_sgpr_workgroup_id_y 0
		.amdhsa_system_sgpr_workgroup_id_z 0
		.amdhsa_system_sgpr_workgroup_info 0
		.amdhsa_system_vgpr_workitem_id 0
		.amdhsa_next_free_vgpr 12
		.amdhsa_next_free_sgpr 17
		.amdhsa_reserve_vcc 1
		.amdhsa_reserve_flat_scratch 0
		.amdhsa_float_round_mode_32 0
		.amdhsa_float_round_mode_16_64 0
		.amdhsa_float_denorm_mode_32 3
		.amdhsa_float_denorm_mode_16_64 3
		.amdhsa_dx10_clamp 1
		.amdhsa_ieee_mode 1
		.amdhsa_fp16_overflow 0
		.amdhsa_workgroup_processor_mode 1
		.amdhsa_memory_ordered 1
		.amdhsa_forward_progress 1
		.amdhsa_shared_vgpr_count 0
		.amdhsa_exception_fp_ieee_invalid_op 0
		.amdhsa_exception_fp_denorm_src 0
		.amdhsa_exception_fp_ieee_div_zero 0
		.amdhsa_exception_fp_ieee_overflow 0
		.amdhsa_exception_fp_ieee_underflow 0
		.amdhsa_exception_fp_ieee_inexact 0
		.amdhsa_exception_int_div_zero 0
	.end_amdhsa_kernel
	.section	.text._ZN12_GLOBAL__N_141elementwise_kernel_with_index_grid_strideIiZZZN2at6native17linspace_cuda_outERKN3c106ScalarES6_lRNS1_6TensorEENKUlvE_clEvENKUlvE2_clEvEUllE_EEvT_T0_PN15function_traitsISD_E11result_typeE,"axG",@progbits,_ZN12_GLOBAL__N_141elementwise_kernel_with_index_grid_strideIiZZZN2at6native17linspace_cuda_outERKN3c106ScalarES6_lRNS1_6TensorEENKUlvE_clEvENKUlvE2_clEvEUllE_EEvT_T0_PN15function_traitsISD_E11result_typeE,comdat
.Lfunc_end6:
	.size	_ZN12_GLOBAL__N_141elementwise_kernel_with_index_grid_strideIiZZZN2at6native17linspace_cuda_outERKN3c106ScalarES6_lRNS1_6TensorEENKUlvE_clEvENKUlvE2_clEvEUllE_EEvT_T0_PN15function_traitsISD_E11result_typeE, .Lfunc_end6-_ZN12_GLOBAL__N_141elementwise_kernel_with_index_grid_strideIiZZZN2at6native17linspace_cuda_outERKN3c106ScalarES6_lRNS1_6TensorEENKUlvE_clEvENKUlvE2_clEvEUllE_EEvT_T0_PN15function_traitsISD_E11result_typeE
                                        ; -- End function
	.set _ZN12_GLOBAL__N_141elementwise_kernel_with_index_grid_strideIiZZZN2at6native17linspace_cuda_outERKN3c106ScalarES6_lRNS1_6TensorEENKUlvE_clEvENKUlvE2_clEvEUllE_EEvT_T0_PN15function_traitsISD_E11result_typeE.num_vgpr, 12
	.set _ZN12_GLOBAL__N_141elementwise_kernel_with_index_grid_strideIiZZZN2at6native17linspace_cuda_outERKN3c106ScalarES6_lRNS1_6TensorEENKUlvE_clEvENKUlvE2_clEvEUllE_EEvT_T0_PN15function_traitsISD_E11result_typeE.num_agpr, 0
	.set _ZN12_GLOBAL__N_141elementwise_kernel_with_index_grid_strideIiZZZN2at6native17linspace_cuda_outERKN3c106ScalarES6_lRNS1_6TensorEENKUlvE_clEvENKUlvE2_clEvEUllE_EEvT_T0_PN15function_traitsISD_E11result_typeE.numbered_sgpr, 17
	.set _ZN12_GLOBAL__N_141elementwise_kernel_with_index_grid_strideIiZZZN2at6native17linspace_cuda_outERKN3c106ScalarES6_lRNS1_6TensorEENKUlvE_clEvENKUlvE2_clEvEUllE_EEvT_T0_PN15function_traitsISD_E11result_typeE.num_named_barrier, 0
	.set _ZN12_GLOBAL__N_141elementwise_kernel_with_index_grid_strideIiZZZN2at6native17linspace_cuda_outERKN3c106ScalarES6_lRNS1_6TensorEENKUlvE_clEvENKUlvE2_clEvEUllE_EEvT_T0_PN15function_traitsISD_E11result_typeE.private_seg_size, 0
	.set _ZN12_GLOBAL__N_141elementwise_kernel_with_index_grid_strideIiZZZN2at6native17linspace_cuda_outERKN3c106ScalarES6_lRNS1_6TensorEENKUlvE_clEvENKUlvE2_clEvEUllE_EEvT_T0_PN15function_traitsISD_E11result_typeE.uses_vcc, 1
	.set _ZN12_GLOBAL__N_141elementwise_kernel_with_index_grid_strideIiZZZN2at6native17linspace_cuda_outERKN3c106ScalarES6_lRNS1_6TensorEENKUlvE_clEvENKUlvE2_clEvEUllE_EEvT_T0_PN15function_traitsISD_E11result_typeE.uses_flat_scratch, 0
	.set _ZN12_GLOBAL__N_141elementwise_kernel_with_index_grid_strideIiZZZN2at6native17linspace_cuda_outERKN3c106ScalarES6_lRNS1_6TensorEENKUlvE_clEvENKUlvE2_clEvEUllE_EEvT_T0_PN15function_traitsISD_E11result_typeE.has_dyn_sized_stack, 0
	.set _ZN12_GLOBAL__N_141elementwise_kernel_with_index_grid_strideIiZZZN2at6native17linspace_cuda_outERKN3c106ScalarES6_lRNS1_6TensorEENKUlvE_clEvENKUlvE2_clEvEUllE_EEvT_T0_PN15function_traitsISD_E11result_typeE.has_recursion, 0
	.set _ZN12_GLOBAL__N_141elementwise_kernel_with_index_grid_strideIiZZZN2at6native17linspace_cuda_outERKN3c106ScalarES6_lRNS1_6TensorEENKUlvE_clEvENKUlvE2_clEvEUllE_EEvT_T0_PN15function_traitsISD_E11result_typeE.has_indirect_call, 0
	.section	.AMDGPU.csdata,"",@progbits
; Kernel info:
; codeLenInByte = 548
; TotalNumSgprs: 19
; NumVgprs: 12
; ScratchSize: 0
; MemoryBound: 0
; FloatMode: 240
; IeeeMode: 1
; LDSByteSize: 0 bytes/workgroup (compile time only)
; SGPRBlocks: 0
; VGPRBlocks: 1
; NumSGPRsForWavesPerEU: 19
; NumVGPRsForWavesPerEU: 12
; Occupancy: 16
; WaveLimiterHint : 0
; COMPUTE_PGM_RSRC2:SCRATCH_EN: 0
; COMPUTE_PGM_RSRC2:USER_SGPR: 6
; COMPUTE_PGM_RSRC2:TRAP_HANDLER: 0
; COMPUTE_PGM_RSRC2:TGID_X_EN: 1
; COMPUTE_PGM_RSRC2:TGID_Y_EN: 0
; COMPUTE_PGM_RSRC2:TGID_Z_EN: 0
; COMPUTE_PGM_RSRC2:TIDIG_COMP_CNT: 0
	.section	.text._ZN12_GLOBAL__N_141elementwise_kernel_with_index_grid_strideIlZZZN2at6native17linspace_cuda_outERKN3c106ScalarES6_lRNS1_6TensorEENKUlvE_clEvENKUlvE2_clEvEUllE_EEvT_T0_PN15function_traitsISD_E11result_typeE,"axG",@progbits,_ZN12_GLOBAL__N_141elementwise_kernel_with_index_grid_strideIlZZZN2at6native17linspace_cuda_outERKN3c106ScalarES6_lRNS1_6TensorEENKUlvE_clEvENKUlvE2_clEvEUllE_EEvT_T0_PN15function_traitsISD_E11result_typeE,comdat
	.globl	_ZN12_GLOBAL__N_141elementwise_kernel_with_index_grid_strideIlZZZN2at6native17linspace_cuda_outERKN3c106ScalarES6_lRNS1_6TensorEENKUlvE_clEvENKUlvE2_clEvEUllE_EEvT_T0_PN15function_traitsISD_E11result_typeE ; -- Begin function _ZN12_GLOBAL__N_141elementwise_kernel_with_index_grid_strideIlZZZN2at6native17linspace_cuda_outERKN3c106ScalarES6_lRNS1_6TensorEENKUlvE_clEvENKUlvE2_clEvEUllE_EEvT_T0_PN15function_traitsISD_E11result_typeE
	.p2align	8
	.type	_ZN12_GLOBAL__N_141elementwise_kernel_with_index_grid_strideIlZZZN2at6native17linspace_cuda_outERKN3c106ScalarES6_lRNS1_6TensorEENKUlvE_clEvENKUlvE2_clEvEUllE_EEvT_T0_PN15function_traitsISD_E11result_typeE,@function
_ZN12_GLOBAL__N_141elementwise_kernel_with_index_grid_strideIlZZZN2at6native17linspace_cuda_outERKN3c106ScalarES6_lRNS1_6TensorEENKUlvE_clEvENKUlvE2_clEvEUllE_EEvT_T0_PN15function_traitsISD_E11result_typeE: ; @_ZN12_GLOBAL__N_141elementwise_kernel_with_index_grid_strideIlZZZN2at6native17linspace_cuda_outERKN3c106ScalarES6_lRNS1_6TensorEENKUlvE_clEvENKUlvE2_clEvEUllE_EEvT_T0_PN15function_traitsISD_E11result_typeE
; %bb.0:
	s_clause 0x1
	s_load_dword s2, s[4:5], 0x44
	s_load_dwordx2 s[8:9], s[4:5], 0x0
	v_mov_b32_e32 v1, 0
	s_add_u32 s0, s4, 56
	s_addc_u32 s1, s5, 0
	s_waitcnt lgkmcnt(0)
	s_and_b32 s10, s2, 0xffff
	s_mov_b32 s2, exec_lo
	v_mad_u64_u32 v[0:1], null, s10, s6, v[0:1]
	v_cmpx_gt_i64_e64 s[8:9], v[0:1]
	s_cbranch_execz .LBB7_7
; %bb.1:
	s_load_dword s13, s[0:1], 0x0
	s_clause 0x3
	s_load_dwordx4 s[0:3], s[4:5], 0x8
	s_load_dwordx2 s[14:15], s[4:5], 0x18
	s_load_dword s12, s[4:5], 0x20
	s_load_dwordx4 s[4:7], s[4:5], 0x28
	v_not_b32_e32 v2, v0
	v_lshlrev_b64 v[4:5], 3, v[0:1]
	v_not_b32_e32 v3, v1
	s_waitcnt lgkmcnt(0)
	s_mul_hi_u32 s11, s10, s13
	s_xor_b32 s17, s2, s3
	s_xor_b32 s19, s0, s1
	s_flbit_i32 s16, s3
	s_flbit_i32 s18, s1
	s_ashr_i32 s17, s17, 31
	s_ashr_i32 s19, s19, 31
	s_add_i32 s16, s16, -1
	s_add_i32 s18, s18, -1
	s_add_i32 s17, s17, 32
	s_add_i32 s19, s19, 32
	s_min_u32 s16, s16, s17
	s_min_u32 s17, s18, s19
	s_lshl_b64 s[2:3], s[2:3], s16
	s_lshl_b64 s[0:1], s[0:1], s17
	s_min_u32 s2, s2, 1
	s_min_u32 s0, s0, 1
	s_or_b32 s2, s3, s2
	s_or_b32 s0, s1, s0
	v_cvt_f32_i32_e32 v6, s2
	v_cvt_f32_i32_e32 v7, s0
	v_add_co_u32 v2, vcc_lo, v2, s14
	v_add_co_ci_u32_e64 v3, null, s15, v3, vcc_lo
	s_sub_i32 s0, 32, s16
	s_sub_i32 s1, 32, s17
	v_add_co_u32 v4, vcc_lo, s6, v4
	v_ldexp_f32 v6, v6, s0
	v_ldexp_f32 v7, v7, s1
	v_add_co_ci_u32_e64 v5, null, s7, v5, vcc_lo
	s_mul_i32 s10, s10, s13
	s_mov_b32 s1, 0
	s_lshl_b64 s[2:3], s[10:11], 3
	s_branch .LBB7_3
.LBB7_2:                                ;   in Loop: Header=BB7_3 Depth=1
	s_or_b32 exec_lo, exec_lo, s0
	v_trunc_f32_e32 v8, v8
	v_add_co_u32 v0, vcc_lo, v0, s10
	v_add_co_ci_u32_e64 v1, null, s11, v1, vcc_lo
	v_mul_f32_e64 v9, 0x2f800000, |v8|
	v_ashrrev_i32_e32 v11, 31, v8
	v_floor_f32_e32 v9, v9
	v_fma_f32 v10, 0xcf800000, v9, |v8|
	v_cvt_u32_f32_e32 v8, v9
	v_cvt_u32_f32_e32 v9, v10
	v_xor_b32_e32 v10, v8, v11
	v_xor_b32_e32 v8, v9, v11
	v_sub_co_u32 v8, vcc_lo, v8, v11
	v_sub_co_ci_u32_e64 v9, null, v10, v11, vcc_lo
	v_sub_co_u32 v2, vcc_lo, v2, s10
	v_subrev_co_ci_u32_e64 v3, null, s11, v3, vcc_lo
	v_cmp_le_i64_e32 vcc_lo, s[8:9], v[0:1]
	global_store_dwordx2 v[4:5], v[8:9], off
	v_add_co_u32 v4, s0, v4, s2
	v_add_co_ci_u32_e64 v5, null, s3, v5, s0
	s_or_b32 s1, vcc_lo, s1
	s_andn2_b32 exec_lo, exec_lo, s1
	s_cbranch_execz .LBB7_7
.LBB7_3:                                ; =>This Inner Loop Header: Depth=1
	s_mov_b32 s0, exec_lo
                                        ; implicit-def: $vgpr8
	v_cmpx_le_i64_e64 s[4:5], v[0:1]
	s_xor_b32 s0, exec_lo, s0
	s_cbranch_execz .LBB7_5
; %bb.4:                                ;   in Loop: Header=BB7_3 Depth=1
	v_xor_b32_e32 v8, v2, v3
	v_ffbh_i32_e32 v9, v3
	v_ashrrev_i32_e32 v8, 31, v8
	v_add_nc_u32_e32 v9, -1, v9
	v_add_nc_u32_e32 v8, 32, v8
	v_min_u32_e32 v10, v9, v8
	v_lshlrev_b64 v[8:9], v10, v[2:3]
	v_min_u32_e32 v8, 1, v8
	v_or_b32_e32 v8, v9, v8
	v_sub_nc_u32_e32 v9, 32, v10
	v_cvt_f32_i32_e32 v8, v8
	v_ldexp_f32 v8, v8, v9
	v_fma_f32 v8, -s12, v8, v6
.LBB7_5:                                ;   in Loop: Header=BB7_3 Depth=1
	s_andn2_saveexec_b32 s0, s0
	s_cbranch_execz .LBB7_2
; %bb.6:                                ;   in Loop: Header=BB7_3 Depth=1
	v_ffbh_u32_e32 v8, v1
	v_min_u32_e32 v10, 32, v8
	v_lshlrev_b64 v[8:9], v10, v[0:1]
	v_min_u32_e32 v8, 1, v8
	v_or_b32_e32 v8, v9, v8
	v_sub_nc_u32_e32 v9, 32, v10
	v_cvt_f32_u32_e32 v8, v8
	v_ldexp_f32 v8, v8, v9
	v_fma_f32 v8, s12, v8, v7
	s_branch .LBB7_2
.LBB7_7:
	s_endpgm
	.section	.rodata,"a",@progbits
	.p2align	6, 0x0
	.amdhsa_kernel _ZN12_GLOBAL__N_141elementwise_kernel_with_index_grid_strideIlZZZN2at6native17linspace_cuda_outERKN3c106ScalarES6_lRNS1_6TensorEENKUlvE_clEvENKUlvE2_clEvEUllE_EEvT_T0_PN15function_traitsISD_E11result_typeE
		.amdhsa_group_segment_fixed_size 0
		.amdhsa_private_segment_fixed_size 0
		.amdhsa_kernarg_size 312
		.amdhsa_user_sgpr_count 6
		.amdhsa_user_sgpr_private_segment_buffer 1
		.amdhsa_user_sgpr_dispatch_ptr 0
		.amdhsa_user_sgpr_queue_ptr 0
		.amdhsa_user_sgpr_kernarg_segment_ptr 1
		.amdhsa_user_sgpr_dispatch_id 0
		.amdhsa_user_sgpr_flat_scratch_init 0
		.amdhsa_user_sgpr_private_segment_size 0
		.amdhsa_wavefront_size32 1
		.amdhsa_uses_dynamic_stack 0
		.amdhsa_system_sgpr_private_segment_wavefront_offset 0
		.amdhsa_system_sgpr_workgroup_id_x 1
		.amdhsa_system_sgpr_workgroup_id_y 0
		.amdhsa_system_sgpr_workgroup_id_z 0
		.amdhsa_system_sgpr_workgroup_info 0
		.amdhsa_system_vgpr_workitem_id 0
		.amdhsa_next_free_vgpr 12
		.amdhsa_next_free_sgpr 20
		.amdhsa_reserve_vcc 1
		.amdhsa_reserve_flat_scratch 0
		.amdhsa_float_round_mode_32 0
		.amdhsa_float_round_mode_16_64 0
		.amdhsa_float_denorm_mode_32 3
		.amdhsa_float_denorm_mode_16_64 3
		.amdhsa_dx10_clamp 1
		.amdhsa_ieee_mode 1
		.amdhsa_fp16_overflow 0
		.amdhsa_workgroup_processor_mode 1
		.amdhsa_memory_ordered 1
		.amdhsa_forward_progress 1
		.amdhsa_shared_vgpr_count 0
		.amdhsa_exception_fp_ieee_invalid_op 0
		.amdhsa_exception_fp_denorm_src 0
		.amdhsa_exception_fp_ieee_div_zero 0
		.amdhsa_exception_fp_ieee_overflow 0
		.amdhsa_exception_fp_ieee_underflow 0
		.amdhsa_exception_fp_ieee_inexact 0
		.amdhsa_exception_int_div_zero 0
	.end_amdhsa_kernel
	.section	.text._ZN12_GLOBAL__N_141elementwise_kernel_with_index_grid_strideIlZZZN2at6native17linspace_cuda_outERKN3c106ScalarES6_lRNS1_6TensorEENKUlvE_clEvENKUlvE2_clEvEUllE_EEvT_T0_PN15function_traitsISD_E11result_typeE,"axG",@progbits,_ZN12_GLOBAL__N_141elementwise_kernel_with_index_grid_strideIlZZZN2at6native17linspace_cuda_outERKN3c106ScalarES6_lRNS1_6TensorEENKUlvE_clEvENKUlvE2_clEvEUllE_EEvT_T0_PN15function_traitsISD_E11result_typeE,comdat
.Lfunc_end7:
	.size	_ZN12_GLOBAL__N_141elementwise_kernel_with_index_grid_strideIlZZZN2at6native17linspace_cuda_outERKN3c106ScalarES6_lRNS1_6TensorEENKUlvE_clEvENKUlvE2_clEvEUllE_EEvT_T0_PN15function_traitsISD_E11result_typeE, .Lfunc_end7-_ZN12_GLOBAL__N_141elementwise_kernel_with_index_grid_strideIlZZZN2at6native17linspace_cuda_outERKN3c106ScalarES6_lRNS1_6TensorEENKUlvE_clEvENKUlvE2_clEvEUllE_EEvT_T0_PN15function_traitsISD_E11result_typeE
                                        ; -- End function
	.set _ZN12_GLOBAL__N_141elementwise_kernel_with_index_grid_strideIlZZZN2at6native17linspace_cuda_outERKN3c106ScalarES6_lRNS1_6TensorEENKUlvE_clEvENKUlvE2_clEvEUllE_EEvT_T0_PN15function_traitsISD_E11result_typeE.num_vgpr, 12
	.set _ZN12_GLOBAL__N_141elementwise_kernel_with_index_grid_strideIlZZZN2at6native17linspace_cuda_outERKN3c106ScalarES6_lRNS1_6TensorEENKUlvE_clEvENKUlvE2_clEvEUllE_EEvT_T0_PN15function_traitsISD_E11result_typeE.num_agpr, 0
	.set _ZN12_GLOBAL__N_141elementwise_kernel_with_index_grid_strideIlZZZN2at6native17linspace_cuda_outERKN3c106ScalarES6_lRNS1_6TensorEENKUlvE_clEvENKUlvE2_clEvEUllE_EEvT_T0_PN15function_traitsISD_E11result_typeE.numbered_sgpr, 20
	.set _ZN12_GLOBAL__N_141elementwise_kernel_with_index_grid_strideIlZZZN2at6native17linspace_cuda_outERKN3c106ScalarES6_lRNS1_6TensorEENKUlvE_clEvENKUlvE2_clEvEUllE_EEvT_T0_PN15function_traitsISD_E11result_typeE.num_named_barrier, 0
	.set _ZN12_GLOBAL__N_141elementwise_kernel_with_index_grid_strideIlZZZN2at6native17linspace_cuda_outERKN3c106ScalarES6_lRNS1_6TensorEENKUlvE_clEvENKUlvE2_clEvEUllE_EEvT_T0_PN15function_traitsISD_E11result_typeE.private_seg_size, 0
	.set _ZN12_GLOBAL__N_141elementwise_kernel_with_index_grid_strideIlZZZN2at6native17linspace_cuda_outERKN3c106ScalarES6_lRNS1_6TensorEENKUlvE_clEvENKUlvE2_clEvEUllE_EEvT_T0_PN15function_traitsISD_E11result_typeE.uses_vcc, 1
	.set _ZN12_GLOBAL__N_141elementwise_kernel_with_index_grid_strideIlZZZN2at6native17linspace_cuda_outERKN3c106ScalarES6_lRNS1_6TensorEENKUlvE_clEvENKUlvE2_clEvEUllE_EEvT_T0_PN15function_traitsISD_E11result_typeE.uses_flat_scratch, 0
	.set _ZN12_GLOBAL__N_141elementwise_kernel_with_index_grid_strideIlZZZN2at6native17linspace_cuda_outERKN3c106ScalarES6_lRNS1_6TensorEENKUlvE_clEvENKUlvE2_clEvEUllE_EEvT_T0_PN15function_traitsISD_E11result_typeE.has_dyn_sized_stack, 0
	.set _ZN12_GLOBAL__N_141elementwise_kernel_with_index_grid_strideIlZZZN2at6native17linspace_cuda_outERKN3c106ScalarES6_lRNS1_6TensorEENKUlvE_clEvENKUlvE2_clEvEUllE_EEvT_T0_PN15function_traitsISD_E11result_typeE.has_recursion, 0
	.set _ZN12_GLOBAL__N_141elementwise_kernel_with_index_grid_strideIlZZZN2at6native17linspace_cuda_outERKN3c106ScalarES6_lRNS1_6TensorEENKUlvE_clEvENKUlvE2_clEvEUllE_EEvT_T0_PN15function_traitsISD_E11result_typeE.has_indirect_call, 0
	.section	.AMDGPU.csdata,"",@progbits
; Kernel info:
; codeLenInByte = 580
; TotalNumSgprs: 22
; NumVgprs: 12
; ScratchSize: 0
; MemoryBound: 0
; FloatMode: 240
; IeeeMode: 1
; LDSByteSize: 0 bytes/workgroup (compile time only)
; SGPRBlocks: 0
; VGPRBlocks: 1
; NumSGPRsForWavesPerEU: 22
; NumVGPRsForWavesPerEU: 12
; Occupancy: 16
; WaveLimiterHint : 0
; COMPUTE_PGM_RSRC2:SCRATCH_EN: 0
; COMPUTE_PGM_RSRC2:USER_SGPR: 6
; COMPUTE_PGM_RSRC2:TRAP_HANDLER: 0
; COMPUTE_PGM_RSRC2:TGID_X_EN: 1
; COMPUTE_PGM_RSRC2:TGID_Y_EN: 0
; COMPUTE_PGM_RSRC2:TGID_Z_EN: 0
; COMPUTE_PGM_RSRC2:TIDIG_COMP_CNT: 0
	.section	.text._ZN12_GLOBAL__N_141elementwise_kernel_with_index_grid_strideIiZZZN2at6native17linspace_cuda_outERKN3c106ScalarES6_lRNS1_6TensorEENKUlvE_clEvENKUlvE3_clEvEUllE_EEvT_T0_PN15function_traitsISD_E11result_typeE,"axG",@progbits,_ZN12_GLOBAL__N_141elementwise_kernel_with_index_grid_strideIiZZZN2at6native17linspace_cuda_outERKN3c106ScalarES6_lRNS1_6TensorEENKUlvE_clEvENKUlvE3_clEvEUllE_EEvT_T0_PN15function_traitsISD_E11result_typeE,comdat
	.globl	_ZN12_GLOBAL__N_141elementwise_kernel_with_index_grid_strideIiZZZN2at6native17linspace_cuda_outERKN3c106ScalarES6_lRNS1_6TensorEENKUlvE_clEvENKUlvE3_clEvEUllE_EEvT_T0_PN15function_traitsISD_E11result_typeE ; -- Begin function _ZN12_GLOBAL__N_141elementwise_kernel_with_index_grid_strideIiZZZN2at6native17linspace_cuda_outERKN3c106ScalarES6_lRNS1_6TensorEENKUlvE_clEvENKUlvE3_clEvEUllE_EEvT_T0_PN15function_traitsISD_E11result_typeE
	.p2align	8
	.type	_ZN12_GLOBAL__N_141elementwise_kernel_with_index_grid_strideIiZZZN2at6native17linspace_cuda_outERKN3c106ScalarES6_lRNS1_6TensorEENKUlvE_clEvENKUlvE3_clEvEUllE_EEvT_T0_PN15function_traitsISD_E11result_typeE,@function
_ZN12_GLOBAL__N_141elementwise_kernel_with_index_grid_strideIiZZZN2at6native17linspace_cuda_outERKN3c106ScalarES6_lRNS1_6TensorEENKUlvE_clEvENKUlvE3_clEvEUllE_EEvT_T0_PN15function_traitsISD_E11result_typeE: ; @_ZN12_GLOBAL__N_141elementwise_kernel_with_index_grid_strideIiZZZN2at6native17linspace_cuda_outERKN3c106ScalarES6_lRNS1_6TensorEENKUlvE_clEvENKUlvE3_clEvEUllE_EEvT_T0_PN15function_traitsISD_E11result_typeE
; %bb.0:
	s_clause 0x1
	s_load_dword s2, s[4:5], 0x3c
	s_load_dword s14, s[4:5], 0x0
	s_add_u32 s0, s4, 48
	s_addc_u32 s1, s5, 0
	s_waitcnt lgkmcnt(0)
	s_and_b32 s3, s2, 0xffff
	s_mov_b32 s2, exec_lo
	v_mad_u64_u32 v[1:2], null, s6, s3, v[0:1]
	v_cmpx_gt_i32_e64 s14, v1
	s_cbranch_execz .LBB8_12
; %bb.1:
	s_load_dword s0, s[0:1], 0x0
	s_mov_b32 s16, 0
	s_waitcnt lgkmcnt(0)
	s_mul_i32 s2, s0, s3
	s_add_i32 s0, s6, s0
	v_cvt_f32_u32_e32 v2, s2
	s_sub_i32 s1, 0, s2
	s_mul_i32 s0, s0, s3
	s_mov_b32 s3, exec_lo
	v_add_nc_u32_e32 v4, s0, v0
	v_rcp_iflag_f32_e32 v2, v2
	v_cmp_gt_i32_e32 vcc_lo, s14, v4
	v_max_i32_e32 v5, s14, v4
	v_add_co_ci_u32_e64 v0, null, s0, v0, vcc_lo
	v_mul_f32_e32 v2, 0x4f7ffffe, v2
	v_sub_nc_u32_e32 v0, v5, v0
	v_cvt_u32_f32_e32 v2, v2
	v_mul_lo_u32 v3, s1, v2
	s_clause 0x3
	s_load_dword s1, s[4:5], 0x8
	s_load_dwordx2 s[8:9], s[4:5], 0x10
	s_load_dword s15, s[4:5], 0x18
	s_load_dwordx4 s[4:7], s[4:5], 0x20
	v_mul_hi_u32 v3, v2, v3
	v_add_nc_u32_e32 v2, v2, v3
	v_mul_hi_u32 v2, v0, v2
	v_mul_lo_u32 v3, v2, s2
	v_sub_nc_u32_e32 v0, v0, v3
	v_add_nc_u32_e32 v3, 1, v2
	v_subrev_nc_u32_e32 v4, s2, v0
	v_cmp_le_u32_e64 s0, s2, v0
	v_cndmask_b32_e64 v2, v2, v3, s0
	v_cndmask_b32_e64 v0, v0, v4, s0
	v_add_nc_u32_e32 v3, 1, v2
	v_cmp_le_u32_e64 s0, s2, v0
	v_cndmask_b32_e64 v0, v2, v3, s0
	s_waitcnt lgkmcnt(0)
	s_ashr_i32 s0, s1, 16
	s_sext_i32_i16 s1, s1
	v_cvt_f32_i32_e32 v7, s1
	v_add_co_ci_u32_e64 v4, null, 1, v0, vcc_lo
	v_cvt_f32_i32_e32 v0, s0
	s_mov_b32 s0, -1
	v_cmpx_lt_u32_e32 1, v4
	s_cbranch_execz .LBB8_5
; %bb.2:
	v_add_nc_u32_e32 v2, s2, v1
	v_and_b32_e32 v5, -2, v4
	s_lshl_b32 s19, s2, 1
	s_mov_b32 s10, s4
	s_mov_b32 s11, s5
	v_mov_b32_e32 v3, v2
	v_mov_b32_e32 v6, v5
	;; [unrolled: 1-line block ×3, first 2 shown]
	s_mov_b32 s12, s4
	s_mov_b32 s13, s5
	;; [unrolled: 1-line block ×6, first 2 shown]
.LBB8_3:                                ; =>This Inner Loop Header: Depth=1
	v_xor_b32_e32 v11, -1, v2
	v_xor_b32_e32 v10, -1, v3
	v_ashrrev_i32_e32 v9, 31, v2
	v_mov_b32_e32 v8, v2
	v_ashrrev_i32_e32 v15, 31, v3
	v_ashrrev_i32_e32 v13, 31, v11
	;; [unrolled: 1-line block ×3, first 2 shown]
	v_add_co_u32 v12, s0, s8, v11
	v_add_co_u32 v10, vcc_lo, s17, v10
	v_add_co_ci_u32_e64 v13, null, s9, v13, s0
	v_add_co_ci_u32_e64 v11, null, s18, v14, vcc_lo
	v_mov_b32_e32 v14, v3
	v_xor_b32_e32 v16, v12, v13
	v_ffbh_i32_e32 v18, v13
	v_xor_b32_e32 v17, v10, v11
	v_ffbh_i32_e32 v19, v11
	v_cvt_f32_i32_e32 v20, v2
	v_ashrrev_i32_e32 v16, 31, v16
	v_add_nc_u32_e32 v18, -1, v18
	v_ashrrev_i32_e32 v17, 31, v17
	v_add_nc_u32_e32 v19, -1, v19
	v_cvt_f32_i32_e32 v21, v3
	v_add_nc_u32_e32 v16, 32, v16
	v_cmp_gt_i64_e64 s1, s[10:11], v[8:9]
	v_add_nc_u32_e32 v17, 32, v17
	v_fma_f32 v20, s15, v20, v7
	v_fma_f32 v21, s20, v21, v7
	v_min_u32_e32 v22, v18, v16
	v_add_nc_u32_e32 v6, -2, v6
	v_min_u32_e32 v23, v19, v17
	v_lshlrev_b64 v[16:17], 1, v[8:9]
	v_lshlrev_b64 v[18:19], 1, v[14:15]
	;; [unrolled: 1-line block ×3, first 2 shown]
	v_cmp_eq_u32_e32 vcc_lo, 0, v6
	v_lshlrev_b64 v[10:11], v23, v[10:11]
	v_add_nc_u32_e32 v3, s21, v3
	v_add_nc_u32_e32 v2, s19, v2
	v_min_u32_e32 v12, 1, v12
	s_or_b32 s16, vcc_lo, s16
	v_min_u32_e32 v10, 1, v10
	v_or_b32_e32 v12, v13, v12
	v_sub_nc_u32_e32 v13, 32, v23
	v_or_b32_e32 v10, v11, v10
	v_sub_nc_u32_e32 v11, 32, v22
	v_cvt_f32_i32_e32 v12, v12
	v_cvt_f32_i32_e32 v22, v10
	v_add_co_u32 v10, s0, s6, v16
	v_ldexp_f32 v12, v12, v11
	v_add_co_ci_u32_e64 v11, null, s7, v17, s0
	v_ldexp_f32 v13, v22, v13
	v_cmp_gt_i64_e64 s0, s[12:13], v[14:15]
	v_fma_f32 v12, -s15, v12, v0
	v_fma_f32 v13, -s20, v13, v0
	v_cndmask_b32_e64 v12, v12, v20, s1
	v_cndmask_b32_e64 v13, v13, v21, s0
	v_add_co_u32 v8, s0, s6, v18
	v_cvt_i32_f32_e32 v12, v12
	v_add_co_ci_u32_e64 v9, null, s7, v19, s0
	v_cvt_i32_f32_e32 v13, v13
	global_store_short v[10:11], v12, off
	global_store_short v[8:9], v13, off
	s_andn2_b32 exec_lo, exec_lo, s16
	s_cbranch_execnz .LBB8_3
; %bb.4:
	s_or_b32 exec_lo, exec_lo, s16
	v_mad_u64_u32 v[1:2], null, v5, s2, v[1:2]
	v_cmp_ne_u32_e32 vcc_lo, v4, v5
	s_orn2_b32 s0, vcc_lo, exec_lo
.LBB8_5:
	s_or_b32 exec_lo, exec_lo, s3
	s_and_b32 exec_lo, exec_lo, s0
	s_cbranch_execz .LBB8_12
; %bb.6:
	v_ashrrev_i32_e32 v2, 31, v1
	v_not_b32_e32 v3, v1
	s_ashr_i32 s3, s2, 31
	s_mov_b32 s1, 0
	v_lshlrev_b64 v[5:6], 1, v[1:2]
	v_not_b32_e32 v4, v2
	v_add_co_u32 v3, vcc_lo, v3, s8
	v_add_co_ci_u32_e64 v4, null, s9, v4, vcc_lo
	v_add_co_u32 v5, vcc_lo, s6, v5
	v_add_co_ci_u32_e64 v6, null, s7, v6, vcc_lo
	s_lshl_b64 s[6:7], s[2:3], 1
	s_inst_prefetch 0x1
	s_branch .LBB8_8
	.p2align	6
.LBB8_7:                                ;   in Loop: Header=BB8_8 Depth=1
	s_or_b32 exec_lo, exec_lo, s0
	v_cvt_i32_f32_e32 v8, v8
	v_add_co_u32 v1, vcc_lo, v1, s2
	v_add_co_ci_u32_e64 v2, null, s3, v2, vcc_lo
	v_sub_co_u32 v3, vcc_lo, v3, s2
	global_store_short v[5:6], v8, off
	v_subrev_co_ci_u32_e64 v4, null, s3, v4, vcc_lo
	v_cmp_le_i32_e32 vcc_lo, s14, v1
	v_add_co_u32 v5, s0, v5, s6
	v_add_co_ci_u32_e64 v6, null, s7, v6, s0
	s_or_b32 s1, vcc_lo, s1
	s_andn2_b32 exec_lo, exec_lo, s1
	s_cbranch_execz .LBB8_12
.LBB8_8:                                ; =>This Inner Loop Header: Depth=1
	s_mov_b32 s0, exec_lo
                                        ; implicit-def: $vgpr8
	v_cmpx_le_i64_e64 s[4:5], v[1:2]
	s_xor_b32 s0, exec_lo, s0
	s_cbranch_execz .LBB8_10
; %bb.9:                                ;   in Loop: Header=BB8_8 Depth=1
	v_xor_b32_e32 v8, v3, v4
	v_ffbh_i32_e32 v9, v4
	v_ashrrev_i32_e32 v8, 31, v8
	v_add_nc_u32_e32 v9, -1, v9
	v_add_nc_u32_e32 v8, 32, v8
	v_min_u32_e32 v10, v9, v8
	v_lshlrev_b64 v[8:9], v10, v[3:4]
	v_min_u32_e32 v8, 1, v8
	v_or_b32_e32 v8, v9, v8
	v_sub_nc_u32_e32 v9, 32, v10
	v_cvt_f32_i32_e32 v8, v8
	v_ldexp_f32 v8, v8, v9
	v_fma_f32 v8, -s15, v8, v0
.LBB8_10:                               ;   in Loop: Header=BB8_8 Depth=1
	s_andn2_saveexec_b32 s0, s0
	s_cbranch_execz .LBB8_7
; %bb.11:                               ;   in Loop: Header=BB8_8 Depth=1
	v_cvt_f32_i32_e32 v8, v1
	v_fma_f32 v8, s15, v8, v7
	s_branch .LBB8_7
.LBB8_12:
	s_inst_prefetch 0x2
	s_endpgm
	.section	.rodata,"a",@progbits
	.p2align	6, 0x0
	.amdhsa_kernel _ZN12_GLOBAL__N_141elementwise_kernel_with_index_grid_strideIiZZZN2at6native17linspace_cuda_outERKN3c106ScalarES6_lRNS1_6TensorEENKUlvE_clEvENKUlvE3_clEvEUllE_EEvT_T0_PN15function_traitsISD_E11result_typeE
		.amdhsa_group_segment_fixed_size 0
		.amdhsa_private_segment_fixed_size 0
		.amdhsa_kernarg_size 304
		.amdhsa_user_sgpr_count 6
		.amdhsa_user_sgpr_private_segment_buffer 1
		.amdhsa_user_sgpr_dispatch_ptr 0
		.amdhsa_user_sgpr_queue_ptr 0
		.amdhsa_user_sgpr_kernarg_segment_ptr 1
		.amdhsa_user_sgpr_dispatch_id 0
		.amdhsa_user_sgpr_flat_scratch_init 0
		.amdhsa_user_sgpr_private_segment_size 0
		.amdhsa_wavefront_size32 1
		.amdhsa_uses_dynamic_stack 0
		.amdhsa_system_sgpr_private_segment_wavefront_offset 0
		.amdhsa_system_sgpr_workgroup_id_x 1
		.amdhsa_system_sgpr_workgroup_id_y 0
		.amdhsa_system_sgpr_workgroup_id_z 0
		.amdhsa_system_sgpr_workgroup_info 0
		.amdhsa_system_vgpr_workitem_id 0
		.amdhsa_next_free_vgpr 24
		.amdhsa_next_free_sgpr 22
		.amdhsa_reserve_vcc 1
		.amdhsa_reserve_flat_scratch 0
		.amdhsa_float_round_mode_32 0
		.amdhsa_float_round_mode_16_64 0
		.amdhsa_float_denorm_mode_32 3
		.amdhsa_float_denorm_mode_16_64 3
		.amdhsa_dx10_clamp 1
		.amdhsa_ieee_mode 1
		.amdhsa_fp16_overflow 0
		.amdhsa_workgroup_processor_mode 1
		.amdhsa_memory_ordered 1
		.amdhsa_forward_progress 1
		.amdhsa_shared_vgpr_count 0
		.amdhsa_exception_fp_ieee_invalid_op 0
		.amdhsa_exception_fp_denorm_src 0
		.amdhsa_exception_fp_ieee_div_zero 0
		.amdhsa_exception_fp_ieee_overflow 0
		.amdhsa_exception_fp_ieee_underflow 0
		.amdhsa_exception_fp_ieee_inexact 0
		.amdhsa_exception_int_div_zero 0
	.end_amdhsa_kernel
	.section	.text._ZN12_GLOBAL__N_141elementwise_kernel_with_index_grid_strideIiZZZN2at6native17linspace_cuda_outERKN3c106ScalarES6_lRNS1_6TensorEENKUlvE_clEvENKUlvE3_clEvEUllE_EEvT_T0_PN15function_traitsISD_E11result_typeE,"axG",@progbits,_ZN12_GLOBAL__N_141elementwise_kernel_with_index_grid_strideIiZZZN2at6native17linspace_cuda_outERKN3c106ScalarES6_lRNS1_6TensorEENKUlvE_clEvENKUlvE3_clEvEUllE_EEvT_T0_PN15function_traitsISD_E11result_typeE,comdat
.Lfunc_end8:
	.size	_ZN12_GLOBAL__N_141elementwise_kernel_with_index_grid_strideIiZZZN2at6native17linspace_cuda_outERKN3c106ScalarES6_lRNS1_6TensorEENKUlvE_clEvENKUlvE3_clEvEUllE_EEvT_T0_PN15function_traitsISD_E11result_typeE, .Lfunc_end8-_ZN12_GLOBAL__N_141elementwise_kernel_with_index_grid_strideIiZZZN2at6native17linspace_cuda_outERKN3c106ScalarES6_lRNS1_6TensorEENKUlvE_clEvENKUlvE3_clEvEUllE_EEvT_T0_PN15function_traitsISD_E11result_typeE
                                        ; -- End function
	.set _ZN12_GLOBAL__N_141elementwise_kernel_with_index_grid_strideIiZZZN2at6native17linspace_cuda_outERKN3c106ScalarES6_lRNS1_6TensorEENKUlvE_clEvENKUlvE3_clEvEUllE_EEvT_T0_PN15function_traitsISD_E11result_typeE.num_vgpr, 24
	.set _ZN12_GLOBAL__N_141elementwise_kernel_with_index_grid_strideIiZZZN2at6native17linspace_cuda_outERKN3c106ScalarES6_lRNS1_6TensorEENKUlvE_clEvENKUlvE3_clEvEUllE_EEvT_T0_PN15function_traitsISD_E11result_typeE.num_agpr, 0
	.set _ZN12_GLOBAL__N_141elementwise_kernel_with_index_grid_strideIiZZZN2at6native17linspace_cuda_outERKN3c106ScalarES6_lRNS1_6TensorEENKUlvE_clEvENKUlvE3_clEvEUllE_EEvT_T0_PN15function_traitsISD_E11result_typeE.numbered_sgpr, 22
	.set _ZN12_GLOBAL__N_141elementwise_kernel_with_index_grid_strideIiZZZN2at6native17linspace_cuda_outERKN3c106ScalarES6_lRNS1_6TensorEENKUlvE_clEvENKUlvE3_clEvEUllE_EEvT_T0_PN15function_traitsISD_E11result_typeE.num_named_barrier, 0
	.set _ZN12_GLOBAL__N_141elementwise_kernel_with_index_grid_strideIiZZZN2at6native17linspace_cuda_outERKN3c106ScalarES6_lRNS1_6TensorEENKUlvE_clEvENKUlvE3_clEvEUllE_EEvT_T0_PN15function_traitsISD_E11result_typeE.private_seg_size, 0
	.set _ZN12_GLOBAL__N_141elementwise_kernel_with_index_grid_strideIiZZZN2at6native17linspace_cuda_outERKN3c106ScalarES6_lRNS1_6TensorEENKUlvE_clEvENKUlvE3_clEvEUllE_EEvT_T0_PN15function_traitsISD_E11result_typeE.uses_vcc, 1
	.set _ZN12_GLOBAL__N_141elementwise_kernel_with_index_grid_strideIiZZZN2at6native17linspace_cuda_outERKN3c106ScalarES6_lRNS1_6TensorEENKUlvE_clEvENKUlvE3_clEvEUllE_EEvT_T0_PN15function_traitsISD_E11result_typeE.uses_flat_scratch, 0
	.set _ZN12_GLOBAL__N_141elementwise_kernel_with_index_grid_strideIiZZZN2at6native17linspace_cuda_outERKN3c106ScalarES6_lRNS1_6TensorEENKUlvE_clEvENKUlvE3_clEvEUllE_EEvT_T0_PN15function_traitsISD_E11result_typeE.has_dyn_sized_stack, 0
	.set _ZN12_GLOBAL__N_141elementwise_kernel_with_index_grid_strideIiZZZN2at6native17linspace_cuda_outERKN3c106ScalarES6_lRNS1_6TensorEENKUlvE_clEvENKUlvE3_clEvEUllE_EEvT_T0_PN15function_traitsISD_E11result_typeE.has_recursion, 0
	.set _ZN12_GLOBAL__N_141elementwise_kernel_with_index_grid_strideIiZZZN2at6native17linspace_cuda_outERKN3c106ScalarES6_lRNS1_6TensorEENKUlvE_clEvENKUlvE3_clEvEUllE_EEvT_T0_PN15function_traitsISD_E11result_typeE.has_indirect_call, 0
	.section	.AMDGPU.csdata,"",@progbits
; Kernel info:
; codeLenInByte = 1028
; TotalNumSgprs: 24
; NumVgprs: 24
; ScratchSize: 0
; MemoryBound: 0
; FloatMode: 240
; IeeeMode: 1
; LDSByteSize: 0 bytes/workgroup (compile time only)
; SGPRBlocks: 0
; VGPRBlocks: 2
; NumSGPRsForWavesPerEU: 24
; NumVGPRsForWavesPerEU: 24
; Occupancy: 16
; WaveLimiterHint : 0
; COMPUTE_PGM_RSRC2:SCRATCH_EN: 0
; COMPUTE_PGM_RSRC2:USER_SGPR: 6
; COMPUTE_PGM_RSRC2:TRAP_HANDLER: 0
; COMPUTE_PGM_RSRC2:TGID_X_EN: 1
; COMPUTE_PGM_RSRC2:TGID_Y_EN: 0
; COMPUTE_PGM_RSRC2:TGID_Z_EN: 0
; COMPUTE_PGM_RSRC2:TIDIG_COMP_CNT: 0
	.section	.text._ZN12_GLOBAL__N_141elementwise_kernel_with_index_grid_strideIlZZZN2at6native17linspace_cuda_outERKN3c106ScalarES6_lRNS1_6TensorEENKUlvE_clEvENKUlvE3_clEvEUllE_EEvT_T0_PN15function_traitsISD_E11result_typeE,"axG",@progbits,_ZN12_GLOBAL__N_141elementwise_kernel_with_index_grid_strideIlZZZN2at6native17linspace_cuda_outERKN3c106ScalarES6_lRNS1_6TensorEENKUlvE_clEvENKUlvE3_clEvEUllE_EEvT_T0_PN15function_traitsISD_E11result_typeE,comdat
	.globl	_ZN12_GLOBAL__N_141elementwise_kernel_with_index_grid_strideIlZZZN2at6native17linspace_cuda_outERKN3c106ScalarES6_lRNS1_6TensorEENKUlvE_clEvENKUlvE3_clEvEUllE_EEvT_T0_PN15function_traitsISD_E11result_typeE ; -- Begin function _ZN12_GLOBAL__N_141elementwise_kernel_with_index_grid_strideIlZZZN2at6native17linspace_cuda_outERKN3c106ScalarES6_lRNS1_6TensorEENKUlvE_clEvENKUlvE3_clEvEUllE_EEvT_T0_PN15function_traitsISD_E11result_typeE
	.p2align	8
	.type	_ZN12_GLOBAL__N_141elementwise_kernel_with_index_grid_strideIlZZZN2at6native17linspace_cuda_outERKN3c106ScalarES6_lRNS1_6TensorEENKUlvE_clEvENKUlvE3_clEvEUllE_EEvT_T0_PN15function_traitsISD_E11result_typeE,@function
_ZN12_GLOBAL__N_141elementwise_kernel_with_index_grid_strideIlZZZN2at6native17linspace_cuda_outERKN3c106ScalarES6_lRNS1_6TensorEENKUlvE_clEvENKUlvE3_clEvEUllE_EEvT_T0_PN15function_traitsISD_E11result_typeE: ; @_ZN12_GLOBAL__N_141elementwise_kernel_with_index_grid_strideIlZZZN2at6native17linspace_cuda_outERKN3c106ScalarES6_lRNS1_6TensorEENKUlvE_clEvENKUlvE3_clEvEUllE_EEvT_T0_PN15function_traitsISD_E11result_typeE
; %bb.0:
	s_clause 0x1
	s_load_dword s2, s[4:5], 0x3c
	s_load_dwordx2 s[12:13], s[4:5], 0x0
	v_mov_b32_e32 v1, 0
	s_add_u32 s0, s4, 48
	s_addc_u32 s1, s5, 0
	s_mov_b32 s3, exec_lo
	s_waitcnt lgkmcnt(0)
	s_and_b32 s2, s2, 0xffff
	v_mad_u64_u32 v[2:3], null, s2, s6, v[0:1]
	v_cmpx_gt_i64_e64 s[12:13], v[2:3]
	s_cbranch_execz .LBB9_18
; %bb.1:
	s_load_dword s0, s[0:1], 0x0
	s_waitcnt lgkmcnt(0)
	s_add_u32 s1, s6, s0
	s_mul_hi_u32 s7, s2, s0
	v_mad_u64_u32 v[5:6], null, s1, s2, v[0:1]
	s_addc_u32 s1, 0, 0
	s_mul_i32 s6, s2, s0
	s_mov_b32 s0, exec_lo
	v_mov_b32_e32 v0, v6
	v_mad_u64_u32 v[7:8], null, s1, s2, v[0:1]
	v_mov_b32_e32 v6, v7
	v_cmp_gt_i64_e32 vcc_lo, s[12:13], v[5:6]
	v_cndmask_b32_e64 v4, 0, 1, vcc_lo
	v_cndmask_b32_e64 v0, v7, s13, vcc_lo
	;; [unrolled: 1-line block ×3, first 2 shown]
	v_add_co_u32 v5, vcc_lo, v5, v4
	v_add_co_ci_u32_e64 v7, null, 0, v7, vcc_lo
	v_sub_co_u32 v5, vcc_lo, v6, v5
	v_sub_co_ci_u32_e64 v6, null, v0, v7, vcc_lo
	v_mov_b32_e32 v7, v1
                                        ; implicit-def: $vgpr0_vgpr1
	v_or_b32_e32 v8, s7, v6
	v_cmpx_ne_u64_e32 0, v[7:8]
	s_xor_b32 s1, exec_lo, s0
	s_cbranch_execz .LBB9_3
; %bb.2:
	v_cvt_f32_u32_e32 v0, s6
	v_cvt_f32_u32_e32 v1, s7
	s_sub_u32 s3, 0, s6
	s_subb_u32 s8, 0, s7
	v_fmamk_f32 v0, v1, 0x4f800000, v0
	v_rcp_f32_e32 v0, v0
	v_mul_f32_e32 v0, 0x5f7ffffc, v0
	v_mul_f32_e32 v1, 0x2f800000, v0
	v_trunc_f32_e32 v1, v1
	v_fmamk_f32 v0, v1, 0xcf800000, v0
	v_cvt_u32_f32_e32 v1, v1
	v_cvt_u32_f32_e32 v0, v0
	v_readfirstlane_b32 s0, v1
	v_readfirstlane_b32 s2, v0
	s_mul_i32 s9, s3, s0
	s_mul_hi_u32 s11, s3, s2
	s_mul_i32 s10, s8, s2
	s_add_i32 s9, s11, s9
	s_mul_i32 s14, s3, s2
	s_add_i32 s9, s9, s10
	s_mul_hi_u32 s11, s2, s14
	s_mul_i32 s16, s2, s9
	s_mul_hi_u32 s15, s0, s14
	s_mul_i32 s10, s0, s14
	s_mul_hi_u32 s14, s2, s9
	s_add_u32 s11, s11, s16
	s_addc_u32 s14, 0, s14
	s_mul_hi_u32 s17, s0, s9
	s_add_u32 s10, s11, s10
	s_mul_i32 s9, s0, s9
	s_addc_u32 s10, s14, s15
	s_addc_u32 s11, s17, 0
	s_add_u32 s9, s10, s9
	s_addc_u32 s10, 0, s11
	s_add_u32 s2, s2, s9
	s_cselect_b32 s9, -1, 0
	s_mul_hi_u32 s11, s3, s2
	s_cmp_lg_u32 s9, 0
	s_mul_i32 s9, s3, s2
	s_addc_u32 s0, s0, s10
	s_mul_i32 s8, s8, s2
	s_mul_i32 s3, s3, s0
	s_mul_hi_u32 s10, s2, s9
	s_add_i32 s3, s11, s3
	s_mul_hi_u32 s11, s0, s9
	s_add_i32 s3, s3, s8
	s_mul_i32 s8, s0, s9
	s_mul_i32 s15, s2, s3
	s_mul_hi_u32 s14, s2, s3
	s_add_u32 s10, s10, s15
	s_addc_u32 s14, 0, s14
	s_mul_hi_u32 s9, s0, s3
	s_add_u32 s8, s10, s8
	s_mul_i32 s3, s0, s3
	s_addc_u32 s8, s14, s11
	s_addc_u32 s9, s9, 0
	s_add_u32 s3, s8, s3
	s_addc_u32 s8, 0, s9
	s_add_u32 s2, s2, s3
	s_cselect_b32 s3, -1, 0
	v_mul_hi_u32 v11, v5, s2
	s_cmp_lg_u32 s3, 0
	v_mad_u64_u32 v[7:8], null, v6, s2, 0
	s_addc_u32 s0, s0, s8
	v_mad_u64_u32 v[0:1], null, v5, s0, 0
	v_mad_u64_u32 v[9:10], null, v6, s0, 0
	v_add_co_u32 v0, vcc_lo, v11, v0
	v_add_co_ci_u32_e64 v1, null, 0, v1, vcc_lo
	v_add_co_u32 v0, vcc_lo, v0, v7
	v_add_co_ci_u32_e32 v0, vcc_lo, v1, v8, vcc_lo
	v_add_co_ci_u32_e32 v1, vcc_lo, 0, v10, vcc_lo
	v_add_co_u32 v7, vcc_lo, v0, v9
	v_add_co_ci_u32_e64 v8, null, 0, v1, vcc_lo
	v_mul_lo_u32 v9, s7, v7
	v_mad_u64_u32 v[0:1], null, s6, v7, 0
	v_mul_lo_u32 v10, s6, v8
	v_sub_co_u32 v0, vcc_lo, v5, v0
	v_add3_u32 v1, v1, v10, v9
	v_sub_nc_u32_e32 v9, v6, v1
	v_sub_co_ci_u32_e64 v1, null, v6, v1, vcc_lo
	v_subrev_co_ci_u32_e64 v5, null, s7, v9, vcc_lo
	v_add_co_u32 v9, s0, v7, 2
	v_add_co_ci_u32_e64 v10, null, 0, v8, s0
	v_sub_co_u32 v11, s0, v0, s6
	v_subrev_co_ci_u32_e64 v5, null, 0, v5, s0
	v_cmp_eq_u32_e64 s0, s7, v1
	v_cmp_le_u32_e32 vcc_lo, s6, v11
	v_cndmask_b32_e64 v6, 0, -1, vcc_lo
	v_cmp_le_u32_e32 vcc_lo, s7, v5
	v_cndmask_b32_e64 v11, 0, -1, vcc_lo
	;; [unrolled: 2-line block ×4, first 2 shown]
	v_cmp_eq_u32_e32 vcc_lo, s7, v5
	v_cndmask_b32_e64 v0, v12, v0, s0
	v_cndmask_b32_e32 v5, v11, v6, vcc_lo
	v_add_co_u32 v6, vcc_lo, v7, 1
	v_add_co_ci_u32_e64 v11, null, 0, v8, vcc_lo
	v_cmp_ne_u32_e32 vcc_lo, 0, v5
	v_cndmask_b32_e32 v1, v11, v10, vcc_lo
	v_cndmask_b32_e32 v5, v6, v9, vcc_lo
	v_cmp_ne_u32_e32 vcc_lo, 0, v0
	v_cndmask_b32_e32 v1, v8, v1, vcc_lo
	v_cndmask_b32_e32 v0, v7, v5, vcc_lo
                                        ; implicit-def: $vgpr5
.LBB9_3:
	s_or_saveexec_b32 s1, s1
	s_clause 0x2
	s_load_dwordx2 s[14:15], s[4:5], 0x10
	s_load_dword s0, s[4:5], 0x8
	s_load_dwordx4 s[8:11], s[4:5], 0x20
	s_xor_b32 exec_lo, exec_lo, s1
	s_cbranch_execz .LBB9_5
; %bb.4:
	v_cvt_f32_u32_e32 v0, s6
	s_sub_i32 s2, 0, s6
	v_rcp_iflag_f32_e32 v0, v0
	v_mul_f32_e32 v0, 0x4f7ffffe, v0
	v_cvt_u32_f32_e32 v0, v0
	v_mul_lo_u32 v1, s2, v0
	v_mul_hi_u32 v1, v0, v1
	v_add_nc_u32_e32 v0, v0, v1
	v_mul_hi_u32 v0, v5, v0
	v_mul_lo_u32 v1, v0, s6
	v_sub_nc_u32_e32 v1, v5, v1
	v_add_nc_u32_e32 v5, 1, v0
	v_subrev_nc_u32_e32 v6, s6, v1
	v_cmp_le_u32_e32 vcc_lo, s6, v1
	v_cndmask_b32_e32 v1, v1, v6, vcc_lo
	v_cndmask_b32_e32 v0, v0, v5, vcc_lo
	v_cmp_le_u32_e32 vcc_lo, s6, v1
	v_add_nc_u32_e32 v5, 1, v0
	v_mov_b32_e32 v1, 0
	v_cndmask_b32_e32 v0, v0, v5, vcc_lo
.LBB9_5:
	s_or_b32 exec_lo, exec_lo, s1
	s_load_dword s3, s[4:5], 0x18
	v_add_co_u32 v0, vcc_lo, v0, v4
	v_add_co_ci_u32_e64 v1, null, 0, v1, vcc_lo
	s_waitcnt lgkmcnt(0)
	s_ashr_i32 s1, s0, 16
	v_add_co_u32 v0, vcc_lo, v0, 1
	s_sext_i32_i16 s0, s0
	v_add_co_ci_u32_e64 v1, null, 0, v1, vcc_lo
	v_cvt_f32_i32_e32 v14, s1
	v_cvt_f32_i32_e32 v15, s0
	s_mov_b32 s0, 0
                                        ; implicit-def: $vgpr4_vgpr5
	s_mov_b32 s1, exec_lo
	v_cmpx_lt_u64_e32 1, v[0:1]
	s_xor_b32 s22, exec_lo, s1
	s_cbranch_execnz .LBB9_8
; %bb.6:
	s_andn2_saveexec_b32 s1, s22
	s_cbranch_execnz .LBB9_11
.LBB9_7:
	s_or_b32 exec_lo, exec_lo, s1
	s_and_b32 exec_lo, exec_lo, s0
	s_cbranch_execnz .LBB9_12
	s_branch .LBB9_18
.LBB9_8:
	v_lshlrev_b64 v[6:7], 1, v[2:3]
	v_add_co_u32 v4, vcc_lo, v2, s6
	v_mov_b32_e32 v9, v1
	v_add_co_ci_u32_e64 v5, null, s7, v3, vcc_lo
	v_and_b32_e32 v8, -2, v0
	v_add_co_u32 v10, vcc_lo, s10, v6
	v_add_co_ci_u32_e64 v11, null, s11, v7, vcc_lo
	v_mov_b32_e32 v13, v9
	v_mov_b32_e32 v7, v5
	;; [unrolled: 1-line block ×6, first 2 shown]
	s_lshl_b64 s[18:19], s[6:7], 1
	s_mov_b32 s4, s8
	s_mov_b32 s5, s9
	;; [unrolled: 1-line block ×9, first 2 shown]
	s_lshl_b64 s[20:21], s[6:7], 2
	s_mov_b32 s28, 0
.LBB9_9:                                ; =>This Inner Loop Header: Depth=1
	v_not_b32_e32 v18, v4
	v_add_co_u32 v16, vcc_lo, v10, s18
	v_not_b32_e32 v19, v5
	v_add_co_ci_u32_e64 v17, null, s19, v11, vcc_lo
	v_add_co_u32 v12, vcc_lo, v12, -2
	v_add_co_ci_u32_e64 v13, null, -1, v13, vcc_lo
	v_add_co_u32 v18, vcc_lo, s14, v18
	v_ffbh_u32_e32 v22, v5
	v_ffbh_u32_e32 v23, v7
	v_not_b32_e32 v20, v6
	v_add_co_ci_u32_e64 v19, null, s15, v19, vcc_lo
	v_not_b32_e32 v21, v7
	v_min_u32_e32 v24, 32, v22
	v_min_u32_e32 v26, 32, v23
	v_add_co_u32 v20, vcc_lo, s23, v20
	v_xor_b32_e32 v27, v18, v19
	v_add_co_ci_u32_e64 v21, null, s24, v21, vcc_lo
	v_lshlrev_b64 v[22:23], v24, v[4:5]
	v_sub_nc_u32_e32 v31, 32, v24
	v_lshlrev_b64 v[24:25], v26, v[6:7]
	v_ffbh_i32_e32 v28, v19
	v_ashrrev_i32_e32 v27, 31, v27
	v_xor_b32_e32 v29, v20, v21
	v_min_u32_e32 v22, 1, v22
	v_ffbh_i32_e32 v30, v21
	v_add_nc_u32_e32 v28, -1, v28
	v_min_u32_e32 v24, 1, v24
	v_add_nc_u32_e32 v27, 32, v27
	v_ashrrev_i32_e32 v29, 31, v29
	v_or_b32_e32 v22, v23, v22
	v_add_nc_u32_e32 v30, -1, v30
	v_or_b32_e32 v23, v25, v24
	v_min_u32_e32 v25, v28, v27
	v_add_nc_u32_e32 v29, 32, v29
	v_cvt_f32_u32_e32 v22, v22
	v_sub_nc_u32_e32 v26, 32, v26
	v_cvt_f32_u32_e32 v23, v23
	v_lshlrev_b64 v[18:19], v25, v[18:19]
	v_min_u32_e32 v24, v30, v29
	v_sub_nc_u32_e32 v25, 32, v25
	v_ldexp_f32 v22, v22, v31
	v_cmp_gt_i64_e64 s1, s[4:5], v[4:5]
	v_ldexp_f32 v23, v23, v26
	v_min_u32_e32 v18, 1, v18
	v_lshlrev_b64 v[20:21], v24, v[20:21]
	v_sub_nc_u32_e32 v24, 32, v24
	v_fma_f32 v22, s3, v22, v15
	v_cmp_gt_i64_e64 s0, s[16:17], v[6:7]
	v_or_b32_e32 v18, v19, v18
	v_fma_f32 v23, s25, v23, v15
	v_min_u32_e32 v20, 1, v20
	v_add_co_u32 v6, s2, v6, s26
	v_cvt_f32_i32_e32 v18, v18
	v_cmp_eq_u64_e32 vcc_lo, 0, v[12:13]
	v_or_b32_e32 v20, v21, v20
	v_add_co_ci_u32_e64 v7, null, s27, v7, s2
	v_ldexp_f32 v18, v18, v25
	v_add_co_u32 v4, s2, v4, s18
	v_cvt_f32_i32_e32 v19, v20
	v_add_co_ci_u32_e64 v5, null, s19, v5, s2
	v_fma_f32 v18, -s3, v18, v14
	s_or_b32 s28, vcc_lo, s28
	v_ldexp_f32 v19, v19, v24
	v_cndmask_b32_e64 v18, v18, v22, s1
	v_fma_f32 v19, -s25, v19, v14
	v_cvt_i32_f32_e32 v18, v18
	v_cndmask_b32_e64 v19, v19, v23, s0
	global_store_short v[10:11], v18, off
	v_add_co_u32 v10, s0, v10, s20
	v_cvt_i32_f32_e32 v19, v19
	v_add_co_ci_u32_e64 v11, null, s21, v11, s0
	global_store_short v[16:17], v19, off
	s_andn2_b32 exec_lo, exec_lo, s28
	s_cbranch_execnz .LBB9_9
; %bb.10:
	s_or_b32 exec_lo, exec_lo, s28
	v_mad_u64_u32 v[2:3], null, v8, s6, v[2:3]
	v_mul_lo_u32 v4, v8, s7
	v_mul_lo_u32 v5, v9, s6
	v_cmp_ne_u64_e32 vcc_lo, v[0:1], v[8:9]
	s_and_b32 s0, vcc_lo, exec_lo
	v_add3_u32 v3, v5, v3, v4
	v_mov_b32_e32 v4, s18
	v_mov_b32_e32 v5, s19
	s_andn2_saveexec_b32 s1, s22
	s_cbranch_execz .LBB9_7
.LBB9_11:
	s_lshl_b64 s[4:5], s[6:7], 1
	s_or_b32 s0, s0, exec_lo
	v_mov_b32_e32 v4, s4
	v_mov_b32_e32 v5, s5
	s_or_b32 exec_lo, exec_lo, s1
	s_and_b32 exec_lo, exec_lo, s0
	s_cbranch_execz .LBB9_18
.LBB9_12:
	v_not_b32_e32 v0, v2
	v_lshlrev_b64 v[6:7], 1, v[2:3]
	v_not_b32_e32 v1, v3
	s_mov_b32 s1, 0
	v_add_co_u32 v0, vcc_lo, v0, s14
	v_add_co_ci_u32_e64 v1, null, s15, v1, vcc_lo
	v_add_co_u32 v6, vcc_lo, s10, v6
	v_add_co_ci_u32_e64 v7, null, s11, v7, vcc_lo
	s_branch .LBB9_14
.LBB9_13:                               ;   in Loop: Header=BB9_14 Depth=1
	s_or_b32 exec_lo, exec_lo, s0
	v_add_co_u32 v2, vcc_lo, v2, s6
	v_add_co_ci_u32_e64 v3, null, s7, v3, vcc_lo
	v_cvt_i32_f32_e32 v8, v8
	v_sub_co_u32 v0, vcc_lo, v0, s6
	v_subrev_co_ci_u32_e64 v1, null, s7, v1, vcc_lo
	v_cmp_le_i64_e32 vcc_lo, s[12:13], v[2:3]
	global_store_short v[6:7], v8, off
	v_add_co_u32 v6, s0, v6, v4
	v_add_co_ci_u32_e64 v7, null, v7, v5, s0
	s_or_b32 s1, vcc_lo, s1
	s_andn2_b32 exec_lo, exec_lo, s1
	s_cbranch_execz .LBB9_18
.LBB9_14:                               ; =>This Inner Loop Header: Depth=1
	s_mov_b32 s0, exec_lo
                                        ; implicit-def: $vgpr8
	v_cmpx_le_i64_e64 s[8:9], v[2:3]
	s_xor_b32 s0, exec_lo, s0
	s_cbranch_execz .LBB9_16
; %bb.15:                               ;   in Loop: Header=BB9_14 Depth=1
	v_xor_b32_e32 v8, v0, v1
	v_ffbh_i32_e32 v9, v1
	v_ashrrev_i32_e32 v8, 31, v8
	v_add_nc_u32_e32 v9, -1, v9
	v_add_nc_u32_e32 v8, 32, v8
	v_min_u32_e32 v10, v9, v8
	v_lshlrev_b64 v[8:9], v10, v[0:1]
	v_min_u32_e32 v8, 1, v8
	v_or_b32_e32 v8, v9, v8
	v_sub_nc_u32_e32 v9, 32, v10
	v_cvt_f32_i32_e32 v8, v8
	v_ldexp_f32 v8, v8, v9
	v_fma_f32 v8, -s3, v8, v14
.LBB9_16:                               ;   in Loop: Header=BB9_14 Depth=1
	s_andn2_saveexec_b32 s0, s0
	s_cbranch_execz .LBB9_13
; %bb.17:                               ;   in Loop: Header=BB9_14 Depth=1
	v_ffbh_u32_e32 v8, v3
	v_min_u32_e32 v10, 32, v8
	v_lshlrev_b64 v[8:9], v10, v[2:3]
	v_min_u32_e32 v8, 1, v8
	v_or_b32_e32 v8, v9, v8
	v_sub_nc_u32_e32 v9, 32, v10
	v_cvt_f32_u32_e32 v8, v8
	v_ldexp_f32 v8, v8, v9
	v_fma_f32 v8, s3, v8, v15
	s_branch .LBB9_13
.LBB9_18:
	s_endpgm
	.section	.rodata,"a",@progbits
	.p2align	6, 0x0
	.amdhsa_kernel _ZN12_GLOBAL__N_141elementwise_kernel_with_index_grid_strideIlZZZN2at6native17linspace_cuda_outERKN3c106ScalarES6_lRNS1_6TensorEENKUlvE_clEvENKUlvE3_clEvEUllE_EEvT_T0_PN15function_traitsISD_E11result_typeE
		.amdhsa_group_segment_fixed_size 0
		.amdhsa_private_segment_fixed_size 0
		.amdhsa_kernarg_size 304
		.amdhsa_user_sgpr_count 6
		.amdhsa_user_sgpr_private_segment_buffer 1
		.amdhsa_user_sgpr_dispatch_ptr 0
		.amdhsa_user_sgpr_queue_ptr 0
		.amdhsa_user_sgpr_kernarg_segment_ptr 1
		.amdhsa_user_sgpr_dispatch_id 0
		.amdhsa_user_sgpr_flat_scratch_init 0
		.amdhsa_user_sgpr_private_segment_size 0
		.amdhsa_wavefront_size32 1
		.amdhsa_uses_dynamic_stack 0
		.amdhsa_system_sgpr_private_segment_wavefront_offset 0
		.amdhsa_system_sgpr_workgroup_id_x 1
		.amdhsa_system_sgpr_workgroup_id_y 0
		.amdhsa_system_sgpr_workgroup_id_z 0
		.amdhsa_system_sgpr_workgroup_info 0
		.amdhsa_system_vgpr_workitem_id 0
		.amdhsa_next_free_vgpr 32
		.amdhsa_next_free_sgpr 29
		.amdhsa_reserve_vcc 1
		.amdhsa_reserve_flat_scratch 0
		.amdhsa_float_round_mode_32 0
		.amdhsa_float_round_mode_16_64 0
		.amdhsa_float_denorm_mode_32 3
		.amdhsa_float_denorm_mode_16_64 3
		.amdhsa_dx10_clamp 1
		.amdhsa_ieee_mode 1
		.amdhsa_fp16_overflow 0
		.amdhsa_workgroup_processor_mode 1
		.amdhsa_memory_ordered 1
		.amdhsa_forward_progress 1
		.amdhsa_shared_vgpr_count 0
		.amdhsa_exception_fp_ieee_invalid_op 0
		.amdhsa_exception_fp_denorm_src 0
		.amdhsa_exception_fp_ieee_div_zero 0
		.amdhsa_exception_fp_ieee_overflow 0
		.amdhsa_exception_fp_ieee_underflow 0
		.amdhsa_exception_fp_ieee_inexact 0
		.amdhsa_exception_int_div_zero 0
	.end_amdhsa_kernel
	.section	.text._ZN12_GLOBAL__N_141elementwise_kernel_with_index_grid_strideIlZZZN2at6native17linspace_cuda_outERKN3c106ScalarES6_lRNS1_6TensorEENKUlvE_clEvENKUlvE3_clEvEUllE_EEvT_T0_PN15function_traitsISD_E11result_typeE,"axG",@progbits,_ZN12_GLOBAL__N_141elementwise_kernel_with_index_grid_strideIlZZZN2at6native17linspace_cuda_outERKN3c106ScalarES6_lRNS1_6TensorEENKUlvE_clEvENKUlvE3_clEvEUllE_EEvT_T0_PN15function_traitsISD_E11result_typeE,comdat
.Lfunc_end9:
	.size	_ZN12_GLOBAL__N_141elementwise_kernel_with_index_grid_strideIlZZZN2at6native17linspace_cuda_outERKN3c106ScalarES6_lRNS1_6TensorEENKUlvE_clEvENKUlvE3_clEvEUllE_EEvT_T0_PN15function_traitsISD_E11result_typeE, .Lfunc_end9-_ZN12_GLOBAL__N_141elementwise_kernel_with_index_grid_strideIlZZZN2at6native17linspace_cuda_outERKN3c106ScalarES6_lRNS1_6TensorEENKUlvE_clEvENKUlvE3_clEvEUllE_EEvT_T0_PN15function_traitsISD_E11result_typeE
                                        ; -- End function
	.set _ZN12_GLOBAL__N_141elementwise_kernel_with_index_grid_strideIlZZZN2at6native17linspace_cuda_outERKN3c106ScalarES6_lRNS1_6TensorEENKUlvE_clEvENKUlvE3_clEvEUllE_EEvT_T0_PN15function_traitsISD_E11result_typeE.num_vgpr, 32
	.set _ZN12_GLOBAL__N_141elementwise_kernel_with_index_grid_strideIlZZZN2at6native17linspace_cuda_outERKN3c106ScalarES6_lRNS1_6TensorEENKUlvE_clEvENKUlvE3_clEvEUllE_EEvT_T0_PN15function_traitsISD_E11result_typeE.num_agpr, 0
	.set _ZN12_GLOBAL__N_141elementwise_kernel_with_index_grid_strideIlZZZN2at6native17linspace_cuda_outERKN3c106ScalarES6_lRNS1_6TensorEENKUlvE_clEvENKUlvE3_clEvEUllE_EEvT_T0_PN15function_traitsISD_E11result_typeE.numbered_sgpr, 29
	.set _ZN12_GLOBAL__N_141elementwise_kernel_with_index_grid_strideIlZZZN2at6native17linspace_cuda_outERKN3c106ScalarES6_lRNS1_6TensorEENKUlvE_clEvENKUlvE3_clEvEUllE_EEvT_T0_PN15function_traitsISD_E11result_typeE.num_named_barrier, 0
	.set _ZN12_GLOBAL__N_141elementwise_kernel_with_index_grid_strideIlZZZN2at6native17linspace_cuda_outERKN3c106ScalarES6_lRNS1_6TensorEENKUlvE_clEvENKUlvE3_clEvEUllE_EEvT_T0_PN15function_traitsISD_E11result_typeE.private_seg_size, 0
	.set _ZN12_GLOBAL__N_141elementwise_kernel_with_index_grid_strideIlZZZN2at6native17linspace_cuda_outERKN3c106ScalarES6_lRNS1_6TensorEENKUlvE_clEvENKUlvE3_clEvEUllE_EEvT_T0_PN15function_traitsISD_E11result_typeE.uses_vcc, 1
	.set _ZN12_GLOBAL__N_141elementwise_kernel_with_index_grid_strideIlZZZN2at6native17linspace_cuda_outERKN3c106ScalarES6_lRNS1_6TensorEENKUlvE_clEvENKUlvE3_clEvEUllE_EEvT_T0_PN15function_traitsISD_E11result_typeE.uses_flat_scratch, 0
	.set _ZN12_GLOBAL__N_141elementwise_kernel_with_index_grid_strideIlZZZN2at6native17linspace_cuda_outERKN3c106ScalarES6_lRNS1_6TensorEENKUlvE_clEvENKUlvE3_clEvEUllE_EEvT_T0_PN15function_traitsISD_E11result_typeE.has_dyn_sized_stack, 0
	.set _ZN12_GLOBAL__N_141elementwise_kernel_with_index_grid_strideIlZZZN2at6native17linspace_cuda_outERKN3c106ScalarES6_lRNS1_6TensorEENKUlvE_clEvENKUlvE3_clEvEUllE_EEvT_T0_PN15function_traitsISD_E11result_typeE.has_recursion, 0
	.set _ZN12_GLOBAL__N_141elementwise_kernel_with_index_grid_strideIlZZZN2at6native17linspace_cuda_outERKN3c106ScalarES6_lRNS1_6TensorEENKUlvE_clEvENKUlvE3_clEvEUllE_EEvT_T0_PN15function_traitsISD_E11result_typeE.has_indirect_call, 0
	.section	.AMDGPU.csdata,"",@progbits
; Kernel info:
; codeLenInByte = 1916
; TotalNumSgprs: 31
; NumVgprs: 32
; ScratchSize: 0
; MemoryBound: 0
; FloatMode: 240
; IeeeMode: 1
; LDSByteSize: 0 bytes/workgroup (compile time only)
; SGPRBlocks: 0
; VGPRBlocks: 3
; NumSGPRsForWavesPerEU: 31
; NumVGPRsForWavesPerEU: 32
; Occupancy: 16
; WaveLimiterHint : 0
; COMPUTE_PGM_RSRC2:SCRATCH_EN: 0
; COMPUTE_PGM_RSRC2:USER_SGPR: 6
; COMPUTE_PGM_RSRC2:TRAP_HANDLER: 0
; COMPUTE_PGM_RSRC2:TGID_X_EN: 1
; COMPUTE_PGM_RSRC2:TGID_Y_EN: 0
; COMPUTE_PGM_RSRC2:TGID_Z_EN: 0
; COMPUTE_PGM_RSRC2:TIDIG_COMP_CNT: 0
	.section	.text._ZN12_GLOBAL__N_141elementwise_kernel_with_index_grid_strideIiZZZN2at6native17linspace_cuda_outERKN3c106ScalarES6_lRNS1_6TensorEENKUlvE0_clEvENKUlvE_clEvEUllE_EEvT_T0_PN15function_traitsISD_E11result_typeE,"axG",@progbits,_ZN12_GLOBAL__N_141elementwise_kernel_with_index_grid_strideIiZZZN2at6native17linspace_cuda_outERKN3c106ScalarES6_lRNS1_6TensorEENKUlvE0_clEvENKUlvE_clEvEUllE_EEvT_T0_PN15function_traitsISD_E11result_typeE,comdat
	.globl	_ZN12_GLOBAL__N_141elementwise_kernel_with_index_grid_strideIiZZZN2at6native17linspace_cuda_outERKN3c106ScalarES6_lRNS1_6TensorEENKUlvE0_clEvENKUlvE_clEvEUllE_EEvT_T0_PN15function_traitsISD_E11result_typeE ; -- Begin function _ZN12_GLOBAL__N_141elementwise_kernel_with_index_grid_strideIiZZZN2at6native17linspace_cuda_outERKN3c106ScalarES6_lRNS1_6TensorEENKUlvE0_clEvENKUlvE_clEvEUllE_EEvT_T0_PN15function_traitsISD_E11result_typeE
	.p2align	8
	.type	_ZN12_GLOBAL__N_141elementwise_kernel_with_index_grid_strideIiZZZN2at6native17linspace_cuda_outERKN3c106ScalarES6_lRNS1_6TensorEENKUlvE0_clEvENKUlvE_clEvEUllE_EEvT_T0_PN15function_traitsISD_E11result_typeE,@function
_ZN12_GLOBAL__N_141elementwise_kernel_with_index_grid_strideIiZZZN2at6native17linspace_cuda_outERKN3c106ScalarES6_lRNS1_6TensorEENKUlvE0_clEvENKUlvE_clEvEUllE_EEvT_T0_PN15function_traitsISD_E11result_typeE: ; @_ZN12_GLOBAL__N_141elementwise_kernel_with_index_grid_strideIiZZZN2at6native17linspace_cuda_outERKN3c106ScalarES6_lRNS1_6TensorEENKUlvE0_clEvENKUlvE_clEvEUllE_EEvT_T0_PN15function_traitsISD_E11result_typeE
; %bb.0:
	s_clause 0x1
	s_load_dword s2, s[4:5], 0x44
	s_load_dword s16, s[4:5], 0x0
	s_add_u32 s0, s4, 56
	s_addc_u32 s1, s5, 0
	s_mov_b32 s3, exec_lo
	s_waitcnt lgkmcnt(0)
	s_and_b32 s2, s2, 0xffff
	v_mad_u64_u32 v[0:1], null, s6, s2, v[0:1]
	v_cmpx_gt_i32_e64 s16, v0
	s_cbranch_execz .LBB10_7
; %bb.1:
	s_load_dword s0, s[0:1], 0x0
	s_clause 0x1
	s_load_dwordx8 s[8:15], s[4:5], 0x8
	s_load_dwordx4 s[4:7], s[4:5], 0x28
	v_ashrrev_i32_e32 v1, 31, v0
	v_not_b32_e32 v4, v0
	s_mov_b32 s1, 0
	v_lshlrev_b64 v[2:3], 3, v[0:1]
	v_not_b32_e32 v5, v1
	s_waitcnt lgkmcnt(0)
	s_mul_i32 s2, s0, s2
	v_add_co_u32 v6, vcc_lo, v4, s12
	v_add_co_ci_u32_e64 v7, null, s13, v5, vcc_lo
	v_add_co_u32 v2, vcc_lo, s6, v2
	v_add_co_ci_u32_e64 v3, null, s7, v3, vcc_lo
	s_ashr_i32 s3, s2, 31
	s_lshl_b64 s[6:7], s[2:3], 3
	s_inst_prefetch 0x1
	s_branch .LBB10_3
	.p2align	6
.LBB10_2:                               ;   in Loop: Header=BB10_3 Depth=1
	s_or_b32 exec_lo, exec_lo, s0
	v_add_co_u32 v0, vcc_lo, v0, s2
	v_add_co_ci_u32_e64 v1, null, s3, v1, vcc_lo
	v_sub_co_u32 v6, vcc_lo, v6, s2
	global_store_dwordx2 v[2:3], v[4:5], off
	v_subrev_co_ci_u32_e64 v7, null, s3, v7, vcc_lo
	v_cmp_le_i32_e32 vcc_lo, s16, v0
	v_add_co_u32 v2, s0, v2, s6
	v_add_co_ci_u32_e64 v3, null, s7, v3, s0
	s_or_b32 s1, vcc_lo, s1
	s_andn2_b32 exec_lo, exec_lo, s1
	s_cbranch_execz .LBB10_7
.LBB10_3:                               ; =>This Inner Loop Header: Depth=1
	s_mov_b32 s0, exec_lo
                                        ; implicit-def: $vgpr4_vgpr5
	v_cmpx_le_i64_e64 s[4:5], v[0:1]
	s_xor_b32 s0, exec_lo, s0
	s_cbranch_execz .LBB10_5
; %bb.4:                                ;   in Loop: Header=BB10_3 Depth=1
	v_cvt_f64_i32_e32 v[4:5], v7
	v_cvt_f64_u32_e32 v[8:9], v6
	v_ldexp_f64 v[4:5], v[4:5], 32
	v_add_f64 v[4:5], v[4:5], v[8:9]
	v_fma_f64 v[4:5], -s[14:15], v[4:5], s[10:11]
.LBB10_5:                               ;   in Loop: Header=BB10_3 Depth=1
	s_andn2_saveexec_b32 s0, s0
	s_cbranch_execz .LBB10_2
; %bb.6:                                ;   in Loop: Header=BB10_3 Depth=1
	v_cvt_f64_i32_e32 v[4:5], v0
	v_fma_f64 v[4:5], s[14:15], v[4:5], s[8:9]
	s_branch .LBB10_2
.LBB10_7:
	s_inst_prefetch 0x2
	s_endpgm
	.section	.rodata,"a",@progbits
	.p2align	6, 0x0
	.amdhsa_kernel _ZN12_GLOBAL__N_141elementwise_kernel_with_index_grid_strideIiZZZN2at6native17linspace_cuda_outERKN3c106ScalarES6_lRNS1_6TensorEENKUlvE0_clEvENKUlvE_clEvEUllE_EEvT_T0_PN15function_traitsISD_E11result_typeE
		.amdhsa_group_segment_fixed_size 0
		.amdhsa_private_segment_fixed_size 0
		.amdhsa_kernarg_size 312
		.amdhsa_user_sgpr_count 6
		.amdhsa_user_sgpr_private_segment_buffer 1
		.amdhsa_user_sgpr_dispatch_ptr 0
		.amdhsa_user_sgpr_queue_ptr 0
		.amdhsa_user_sgpr_kernarg_segment_ptr 1
		.amdhsa_user_sgpr_dispatch_id 0
		.amdhsa_user_sgpr_flat_scratch_init 0
		.amdhsa_user_sgpr_private_segment_size 0
		.amdhsa_wavefront_size32 1
		.amdhsa_uses_dynamic_stack 0
		.amdhsa_system_sgpr_private_segment_wavefront_offset 0
		.amdhsa_system_sgpr_workgroup_id_x 1
		.amdhsa_system_sgpr_workgroup_id_y 0
		.amdhsa_system_sgpr_workgroup_id_z 0
		.amdhsa_system_sgpr_workgroup_info 0
		.amdhsa_system_vgpr_workitem_id 0
		.amdhsa_next_free_vgpr 10
		.amdhsa_next_free_sgpr 17
		.amdhsa_reserve_vcc 1
		.amdhsa_reserve_flat_scratch 0
		.amdhsa_float_round_mode_32 0
		.amdhsa_float_round_mode_16_64 0
		.amdhsa_float_denorm_mode_32 3
		.amdhsa_float_denorm_mode_16_64 3
		.amdhsa_dx10_clamp 1
		.amdhsa_ieee_mode 1
		.amdhsa_fp16_overflow 0
		.amdhsa_workgroup_processor_mode 1
		.amdhsa_memory_ordered 1
		.amdhsa_forward_progress 1
		.amdhsa_shared_vgpr_count 0
		.amdhsa_exception_fp_ieee_invalid_op 0
		.amdhsa_exception_fp_denorm_src 0
		.amdhsa_exception_fp_ieee_div_zero 0
		.amdhsa_exception_fp_ieee_overflow 0
		.amdhsa_exception_fp_ieee_underflow 0
		.amdhsa_exception_fp_ieee_inexact 0
		.amdhsa_exception_int_div_zero 0
	.end_amdhsa_kernel
	.section	.text._ZN12_GLOBAL__N_141elementwise_kernel_with_index_grid_strideIiZZZN2at6native17linspace_cuda_outERKN3c106ScalarES6_lRNS1_6TensorEENKUlvE0_clEvENKUlvE_clEvEUllE_EEvT_T0_PN15function_traitsISD_E11result_typeE,"axG",@progbits,_ZN12_GLOBAL__N_141elementwise_kernel_with_index_grid_strideIiZZZN2at6native17linspace_cuda_outERKN3c106ScalarES6_lRNS1_6TensorEENKUlvE0_clEvENKUlvE_clEvEUllE_EEvT_T0_PN15function_traitsISD_E11result_typeE,comdat
.Lfunc_end10:
	.size	_ZN12_GLOBAL__N_141elementwise_kernel_with_index_grid_strideIiZZZN2at6native17linspace_cuda_outERKN3c106ScalarES6_lRNS1_6TensorEENKUlvE0_clEvENKUlvE_clEvEUllE_EEvT_T0_PN15function_traitsISD_E11result_typeE, .Lfunc_end10-_ZN12_GLOBAL__N_141elementwise_kernel_with_index_grid_strideIiZZZN2at6native17linspace_cuda_outERKN3c106ScalarES6_lRNS1_6TensorEENKUlvE0_clEvENKUlvE_clEvEUllE_EEvT_T0_PN15function_traitsISD_E11result_typeE
                                        ; -- End function
	.set _ZN12_GLOBAL__N_141elementwise_kernel_with_index_grid_strideIiZZZN2at6native17linspace_cuda_outERKN3c106ScalarES6_lRNS1_6TensorEENKUlvE0_clEvENKUlvE_clEvEUllE_EEvT_T0_PN15function_traitsISD_E11result_typeE.num_vgpr, 10
	.set _ZN12_GLOBAL__N_141elementwise_kernel_with_index_grid_strideIiZZZN2at6native17linspace_cuda_outERKN3c106ScalarES6_lRNS1_6TensorEENKUlvE0_clEvENKUlvE_clEvEUllE_EEvT_T0_PN15function_traitsISD_E11result_typeE.num_agpr, 0
	.set _ZN12_GLOBAL__N_141elementwise_kernel_with_index_grid_strideIiZZZN2at6native17linspace_cuda_outERKN3c106ScalarES6_lRNS1_6TensorEENKUlvE0_clEvENKUlvE_clEvEUllE_EEvT_T0_PN15function_traitsISD_E11result_typeE.numbered_sgpr, 17
	.set _ZN12_GLOBAL__N_141elementwise_kernel_with_index_grid_strideIiZZZN2at6native17linspace_cuda_outERKN3c106ScalarES6_lRNS1_6TensorEENKUlvE0_clEvENKUlvE_clEvEUllE_EEvT_T0_PN15function_traitsISD_E11result_typeE.num_named_barrier, 0
	.set _ZN12_GLOBAL__N_141elementwise_kernel_with_index_grid_strideIiZZZN2at6native17linspace_cuda_outERKN3c106ScalarES6_lRNS1_6TensorEENKUlvE0_clEvENKUlvE_clEvEUllE_EEvT_T0_PN15function_traitsISD_E11result_typeE.private_seg_size, 0
	.set _ZN12_GLOBAL__N_141elementwise_kernel_with_index_grid_strideIiZZZN2at6native17linspace_cuda_outERKN3c106ScalarES6_lRNS1_6TensorEENKUlvE0_clEvENKUlvE_clEvEUllE_EEvT_T0_PN15function_traitsISD_E11result_typeE.uses_vcc, 1
	.set _ZN12_GLOBAL__N_141elementwise_kernel_with_index_grid_strideIiZZZN2at6native17linspace_cuda_outERKN3c106ScalarES6_lRNS1_6TensorEENKUlvE0_clEvENKUlvE_clEvEUllE_EEvT_T0_PN15function_traitsISD_E11result_typeE.uses_flat_scratch, 0
	.set _ZN12_GLOBAL__N_141elementwise_kernel_with_index_grid_strideIiZZZN2at6native17linspace_cuda_outERKN3c106ScalarES6_lRNS1_6TensorEENKUlvE0_clEvENKUlvE_clEvEUllE_EEvT_T0_PN15function_traitsISD_E11result_typeE.has_dyn_sized_stack, 0
	.set _ZN12_GLOBAL__N_141elementwise_kernel_with_index_grid_strideIiZZZN2at6native17linspace_cuda_outERKN3c106ScalarES6_lRNS1_6TensorEENKUlvE0_clEvENKUlvE_clEvEUllE_EEvT_T0_PN15function_traitsISD_E11result_typeE.has_recursion, 0
	.set _ZN12_GLOBAL__N_141elementwise_kernel_with_index_grid_strideIiZZZN2at6native17linspace_cuda_outERKN3c106ScalarES6_lRNS1_6TensorEENKUlvE0_clEvENKUlvE_clEvEUllE_EEvT_T0_PN15function_traitsISD_E11result_typeE.has_indirect_call, 0
	.section	.AMDGPU.csdata,"",@progbits
; Kernel info:
; codeLenInByte = 352
; TotalNumSgprs: 19
; NumVgprs: 10
; ScratchSize: 0
; MemoryBound: 0
; FloatMode: 240
; IeeeMode: 1
; LDSByteSize: 0 bytes/workgroup (compile time only)
; SGPRBlocks: 0
; VGPRBlocks: 1
; NumSGPRsForWavesPerEU: 19
; NumVGPRsForWavesPerEU: 10
; Occupancy: 16
; WaveLimiterHint : 0
; COMPUTE_PGM_RSRC2:SCRATCH_EN: 0
; COMPUTE_PGM_RSRC2:USER_SGPR: 6
; COMPUTE_PGM_RSRC2:TRAP_HANDLER: 0
; COMPUTE_PGM_RSRC2:TGID_X_EN: 1
; COMPUTE_PGM_RSRC2:TGID_Y_EN: 0
; COMPUTE_PGM_RSRC2:TGID_Z_EN: 0
; COMPUTE_PGM_RSRC2:TIDIG_COMP_CNT: 0
	.section	.text._ZN12_GLOBAL__N_141elementwise_kernel_with_index_grid_strideIlZZZN2at6native17linspace_cuda_outERKN3c106ScalarES6_lRNS1_6TensorEENKUlvE0_clEvENKUlvE_clEvEUllE_EEvT_T0_PN15function_traitsISD_E11result_typeE,"axG",@progbits,_ZN12_GLOBAL__N_141elementwise_kernel_with_index_grid_strideIlZZZN2at6native17linspace_cuda_outERKN3c106ScalarES6_lRNS1_6TensorEENKUlvE0_clEvENKUlvE_clEvEUllE_EEvT_T0_PN15function_traitsISD_E11result_typeE,comdat
	.globl	_ZN12_GLOBAL__N_141elementwise_kernel_with_index_grid_strideIlZZZN2at6native17linspace_cuda_outERKN3c106ScalarES6_lRNS1_6TensorEENKUlvE0_clEvENKUlvE_clEvEUllE_EEvT_T0_PN15function_traitsISD_E11result_typeE ; -- Begin function _ZN12_GLOBAL__N_141elementwise_kernel_with_index_grid_strideIlZZZN2at6native17linspace_cuda_outERKN3c106ScalarES6_lRNS1_6TensorEENKUlvE0_clEvENKUlvE_clEvEUllE_EEvT_T0_PN15function_traitsISD_E11result_typeE
	.p2align	8
	.type	_ZN12_GLOBAL__N_141elementwise_kernel_with_index_grid_strideIlZZZN2at6native17linspace_cuda_outERKN3c106ScalarES6_lRNS1_6TensorEENKUlvE0_clEvENKUlvE_clEvEUllE_EEvT_T0_PN15function_traitsISD_E11result_typeE,@function
_ZN12_GLOBAL__N_141elementwise_kernel_with_index_grid_strideIlZZZN2at6native17linspace_cuda_outERKN3c106ScalarES6_lRNS1_6TensorEENKUlvE0_clEvENKUlvE_clEvEUllE_EEvT_T0_PN15function_traitsISD_E11result_typeE: ; @_ZN12_GLOBAL__N_141elementwise_kernel_with_index_grid_strideIlZZZN2at6native17linspace_cuda_outERKN3c106ScalarES6_lRNS1_6TensorEENKUlvE0_clEvENKUlvE_clEvEUllE_EEvT_T0_PN15function_traitsISD_E11result_typeE
; %bb.0:
	s_clause 0x1
	s_load_dword s2, s[4:5], 0x44
	s_load_dwordx8 s[8:15], s[4:5], 0x0
	v_mov_b32_e32 v1, 0
	s_add_u32 s0, s4, 56
	s_addc_u32 s1, s5, 0
	s_mov_b32 s3, exec_lo
	s_waitcnt lgkmcnt(0)
	s_and_b32 s2, s2, 0xffff
	v_mad_u64_u32 v[0:1], null, s2, s6, v[0:1]
	v_cmpx_gt_i64_e64 s[8:9], v[0:1]
	s_cbranch_execz .LBB11_7
; %bb.1:
	s_load_dword s0, s[0:1], 0x0
	s_load_dwordx8 s[16:23], s[4:5], 0x20
	v_not_b32_e32 v4, v0
	v_lshlrev_b64 v[2:3], 3, v[0:1]
	v_not_b32_e32 v5, v1
	s_mov_b32 s1, 0
	v_add_co_u32 v6, vcc_lo, v4, s14
	v_add_co_ci_u32_e64 v7, null, s15, v5, vcc_lo
	s_waitcnt lgkmcnt(0)
	s_mul_hi_u32 s3, s2, s0
	v_add_co_u32 v2, vcc_lo, s20, v2
	v_add_co_ci_u32_e64 v3, null, s21, v3, vcc_lo
	s_mul_i32 s2, s2, s0
	s_lshl_b64 s[4:5], s[2:3], 3
	s_inst_prefetch 0x1
	s_branch .LBB11_3
	.p2align	6
.LBB11_2:                               ;   in Loop: Header=BB11_3 Depth=1
	s_or_b32 exec_lo, exec_lo, s0
	v_add_co_u32 v0, vcc_lo, v0, s2
	v_add_co_ci_u32_e64 v1, null, s3, v1, vcc_lo
	v_sub_co_u32 v6, vcc_lo, v6, s2
	v_subrev_co_ci_u32_e64 v7, null, s3, v7, vcc_lo
	v_cmp_le_i64_e32 vcc_lo, s[8:9], v[0:1]
	global_store_dwordx2 v[2:3], v[4:5], off
	v_add_co_u32 v2, s0, v2, s4
	v_add_co_ci_u32_e64 v3, null, s5, v3, s0
	s_or_b32 s1, vcc_lo, s1
	s_andn2_b32 exec_lo, exec_lo, s1
	s_cbranch_execz .LBB11_7
.LBB11_3:                               ; =>This Inner Loop Header: Depth=1
	s_mov_b32 s0, exec_lo
                                        ; implicit-def: $vgpr4_vgpr5
	v_cmpx_le_i64_e64 s[18:19], v[0:1]
	s_xor_b32 s0, exec_lo, s0
	s_cbranch_execz .LBB11_5
; %bb.4:                                ;   in Loop: Header=BB11_3 Depth=1
	v_cvt_f64_i32_e32 v[4:5], v7
	v_cvt_f64_u32_e32 v[8:9], v6
	v_ldexp_f64 v[4:5], v[4:5], 32
	v_add_f64 v[4:5], v[4:5], v[8:9]
	v_fma_f64 v[4:5], -s[16:17], v[4:5], s[12:13]
.LBB11_5:                               ;   in Loop: Header=BB11_3 Depth=1
	s_andn2_saveexec_b32 s0, s0
	s_cbranch_execz .LBB11_2
; %bb.6:                                ;   in Loop: Header=BB11_3 Depth=1
	v_cvt_f64_u32_e32 v[4:5], v1
	v_cvt_f64_u32_e32 v[8:9], v0
	v_ldexp_f64 v[4:5], v[4:5], 32
	v_add_f64 v[4:5], v[4:5], v[8:9]
	v_fma_f64 v[4:5], s[16:17], v[4:5], s[10:11]
	s_branch .LBB11_2
.LBB11_7:
	s_inst_prefetch 0x2
	s_endpgm
	.section	.rodata,"a",@progbits
	.p2align	6, 0x0
	.amdhsa_kernel _ZN12_GLOBAL__N_141elementwise_kernel_with_index_grid_strideIlZZZN2at6native17linspace_cuda_outERKN3c106ScalarES6_lRNS1_6TensorEENKUlvE0_clEvENKUlvE_clEvEUllE_EEvT_T0_PN15function_traitsISD_E11result_typeE
		.amdhsa_group_segment_fixed_size 0
		.amdhsa_private_segment_fixed_size 0
		.amdhsa_kernarg_size 312
		.amdhsa_user_sgpr_count 6
		.amdhsa_user_sgpr_private_segment_buffer 1
		.amdhsa_user_sgpr_dispatch_ptr 0
		.amdhsa_user_sgpr_queue_ptr 0
		.amdhsa_user_sgpr_kernarg_segment_ptr 1
		.amdhsa_user_sgpr_dispatch_id 0
		.amdhsa_user_sgpr_flat_scratch_init 0
		.amdhsa_user_sgpr_private_segment_size 0
		.amdhsa_wavefront_size32 1
		.amdhsa_uses_dynamic_stack 0
		.amdhsa_system_sgpr_private_segment_wavefront_offset 0
		.amdhsa_system_sgpr_workgroup_id_x 1
		.amdhsa_system_sgpr_workgroup_id_y 0
		.amdhsa_system_sgpr_workgroup_id_z 0
		.amdhsa_system_sgpr_workgroup_info 0
		.amdhsa_system_vgpr_workitem_id 0
		.amdhsa_next_free_vgpr 10
		.amdhsa_next_free_sgpr 24
		.amdhsa_reserve_vcc 1
		.amdhsa_reserve_flat_scratch 0
		.amdhsa_float_round_mode_32 0
		.amdhsa_float_round_mode_16_64 0
		.amdhsa_float_denorm_mode_32 3
		.amdhsa_float_denorm_mode_16_64 3
		.amdhsa_dx10_clamp 1
		.amdhsa_ieee_mode 1
		.amdhsa_fp16_overflow 0
		.amdhsa_workgroup_processor_mode 1
		.amdhsa_memory_ordered 1
		.amdhsa_forward_progress 1
		.amdhsa_shared_vgpr_count 0
		.amdhsa_exception_fp_ieee_invalid_op 0
		.amdhsa_exception_fp_denorm_src 0
		.amdhsa_exception_fp_ieee_div_zero 0
		.amdhsa_exception_fp_ieee_overflow 0
		.amdhsa_exception_fp_ieee_underflow 0
		.amdhsa_exception_fp_ieee_inexact 0
		.amdhsa_exception_int_div_zero 0
	.end_amdhsa_kernel
	.section	.text._ZN12_GLOBAL__N_141elementwise_kernel_with_index_grid_strideIlZZZN2at6native17linspace_cuda_outERKN3c106ScalarES6_lRNS1_6TensorEENKUlvE0_clEvENKUlvE_clEvEUllE_EEvT_T0_PN15function_traitsISD_E11result_typeE,"axG",@progbits,_ZN12_GLOBAL__N_141elementwise_kernel_with_index_grid_strideIlZZZN2at6native17linspace_cuda_outERKN3c106ScalarES6_lRNS1_6TensorEENKUlvE0_clEvENKUlvE_clEvEUllE_EEvT_T0_PN15function_traitsISD_E11result_typeE,comdat
.Lfunc_end11:
	.size	_ZN12_GLOBAL__N_141elementwise_kernel_with_index_grid_strideIlZZZN2at6native17linspace_cuda_outERKN3c106ScalarES6_lRNS1_6TensorEENKUlvE0_clEvENKUlvE_clEvEUllE_EEvT_T0_PN15function_traitsISD_E11result_typeE, .Lfunc_end11-_ZN12_GLOBAL__N_141elementwise_kernel_with_index_grid_strideIlZZZN2at6native17linspace_cuda_outERKN3c106ScalarES6_lRNS1_6TensorEENKUlvE0_clEvENKUlvE_clEvEUllE_EEvT_T0_PN15function_traitsISD_E11result_typeE
                                        ; -- End function
	.set _ZN12_GLOBAL__N_141elementwise_kernel_with_index_grid_strideIlZZZN2at6native17linspace_cuda_outERKN3c106ScalarES6_lRNS1_6TensorEENKUlvE0_clEvENKUlvE_clEvEUllE_EEvT_T0_PN15function_traitsISD_E11result_typeE.num_vgpr, 10
	.set _ZN12_GLOBAL__N_141elementwise_kernel_with_index_grid_strideIlZZZN2at6native17linspace_cuda_outERKN3c106ScalarES6_lRNS1_6TensorEENKUlvE0_clEvENKUlvE_clEvEUllE_EEvT_T0_PN15function_traitsISD_E11result_typeE.num_agpr, 0
	.set _ZN12_GLOBAL__N_141elementwise_kernel_with_index_grid_strideIlZZZN2at6native17linspace_cuda_outERKN3c106ScalarES6_lRNS1_6TensorEENKUlvE0_clEvENKUlvE_clEvEUllE_EEvT_T0_PN15function_traitsISD_E11result_typeE.numbered_sgpr, 24
	.set _ZN12_GLOBAL__N_141elementwise_kernel_with_index_grid_strideIlZZZN2at6native17linspace_cuda_outERKN3c106ScalarES6_lRNS1_6TensorEENKUlvE0_clEvENKUlvE_clEvEUllE_EEvT_T0_PN15function_traitsISD_E11result_typeE.num_named_barrier, 0
	.set _ZN12_GLOBAL__N_141elementwise_kernel_with_index_grid_strideIlZZZN2at6native17linspace_cuda_outERKN3c106ScalarES6_lRNS1_6TensorEENKUlvE0_clEvENKUlvE_clEvEUllE_EEvT_T0_PN15function_traitsISD_E11result_typeE.private_seg_size, 0
	.set _ZN12_GLOBAL__N_141elementwise_kernel_with_index_grid_strideIlZZZN2at6native17linspace_cuda_outERKN3c106ScalarES6_lRNS1_6TensorEENKUlvE0_clEvENKUlvE_clEvEUllE_EEvT_T0_PN15function_traitsISD_E11result_typeE.uses_vcc, 1
	.set _ZN12_GLOBAL__N_141elementwise_kernel_with_index_grid_strideIlZZZN2at6native17linspace_cuda_outERKN3c106ScalarES6_lRNS1_6TensorEENKUlvE0_clEvENKUlvE_clEvEUllE_EEvT_T0_PN15function_traitsISD_E11result_typeE.uses_flat_scratch, 0
	.set _ZN12_GLOBAL__N_141elementwise_kernel_with_index_grid_strideIlZZZN2at6native17linspace_cuda_outERKN3c106ScalarES6_lRNS1_6TensorEENKUlvE0_clEvENKUlvE_clEvEUllE_EEvT_T0_PN15function_traitsISD_E11result_typeE.has_dyn_sized_stack, 0
	.set _ZN12_GLOBAL__N_141elementwise_kernel_with_index_grid_strideIlZZZN2at6native17linspace_cuda_outERKN3c106ScalarES6_lRNS1_6TensorEENKUlvE0_clEvENKUlvE_clEvEUllE_EEvT_T0_PN15function_traitsISD_E11result_typeE.has_recursion, 0
	.set _ZN12_GLOBAL__N_141elementwise_kernel_with_index_grid_strideIlZZZN2at6native17linspace_cuda_outERKN3c106ScalarES6_lRNS1_6TensorEENKUlvE0_clEvENKUlvE_clEvEUllE_EEvT_T0_PN15function_traitsISD_E11result_typeE.has_indirect_call, 0
	.section	.AMDGPU.csdata,"",@progbits
; Kernel info:
; codeLenInByte = 372
; TotalNumSgprs: 26
; NumVgprs: 10
; ScratchSize: 0
; MemoryBound: 0
; FloatMode: 240
; IeeeMode: 1
; LDSByteSize: 0 bytes/workgroup (compile time only)
; SGPRBlocks: 0
; VGPRBlocks: 1
; NumSGPRsForWavesPerEU: 26
; NumVGPRsForWavesPerEU: 10
; Occupancy: 16
; WaveLimiterHint : 0
; COMPUTE_PGM_RSRC2:SCRATCH_EN: 0
; COMPUTE_PGM_RSRC2:USER_SGPR: 6
; COMPUTE_PGM_RSRC2:TRAP_HANDLER: 0
; COMPUTE_PGM_RSRC2:TGID_X_EN: 1
; COMPUTE_PGM_RSRC2:TGID_Y_EN: 0
; COMPUTE_PGM_RSRC2:TGID_Z_EN: 0
; COMPUTE_PGM_RSRC2:TIDIG_COMP_CNT: 0
	.section	.text._ZN12_GLOBAL__N_141elementwise_kernel_with_index_grid_strideIiZZZN2at6native17linspace_cuda_outERKN3c106ScalarES6_lRNS1_6TensorEENKUlvE0_clEvENKUlvE0_clEvEUllE_EEvT_T0_PN15function_traitsISD_E11result_typeE,"axG",@progbits,_ZN12_GLOBAL__N_141elementwise_kernel_with_index_grid_strideIiZZZN2at6native17linspace_cuda_outERKN3c106ScalarES6_lRNS1_6TensorEENKUlvE0_clEvENKUlvE0_clEvEUllE_EEvT_T0_PN15function_traitsISD_E11result_typeE,comdat
	.globl	_ZN12_GLOBAL__N_141elementwise_kernel_with_index_grid_strideIiZZZN2at6native17linspace_cuda_outERKN3c106ScalarES6_lRNS1_6TensorEENKUlvE0_clEvENKUlvE0_clEvEUllE_EEvT_T0_PN15function_traitsISD_E11result_typeE ; -- Begin function _ZN12_GLOBAL__N_141elementwise_kernel_with_index_grid_strideIiZZZN2at6native17linspace_cuda_outERKN3c106ScalarES6_lRNS1_6TensorEENKUlvE0_clEvENKUlvE0_clEvEUllE_EEvT_T0_PN15function_traitsISD_E11result_typeE
	.p2align	8
	.type	_ZN12_GLOBAL__N_141elementwise_kernel_with_index_grid_strideIiZZZN2at6native17linspace_cuda_outERKN3c106ScalarES6_lRNS1_6TensorEENKUlvE0_clEvENKUlvE0_clEvEUllE_EEvT_T0_PN15function_traitsISD_E11result_typeE,@function
_ZN12_GLOBAL__N_141elementwise_kernel_with_index_grid_strideIiZZZN2at6native17linspace_cuda_outERKN3c106ScalarES6_lRNS1_6TensorEENKUlvE0_clEvENKUlvE0_clEvEUllE_EEvT_T0_PN15function_traitsISD_E11result_typeE: ; @_ZN12_GLOBAL__N_141elementwise_kernel_with_index_grid_strideIiZZZN2at6native17linspace_cuda_outERKN3c106ScalarES6_lRNS1_6TensorEENKUlvE0_clEvENKUlvE0_clEvEUllE_EEvT_T0_PN15function_traitsISD_E11result_typeE
; %bb.0:
	s_clause 0x1
	s_load_dword s2, s[4:5], 0x3c
	s_load_dword s7, s[4:5], 0x0
	s_add_u32 s0, s4, 48
	s_addc_u32 s1, s5, 0
	s_mov_b32 s3, exec_lo
	s_waitcnt lgkmcnt(0)
	s_and_b32 s2, s2, 0xffff
	v_mad_u64_u32 v[0:1], null, s6, s2, v[0:1]
	v_cmpx_gt_i32_e64 s7, v0
	s_cbranch_execz .LBB12_7
; %bb.1:
	s_load_dword s0, s[0:1], 0x0
	s_clause 0x2
	s_load_dwordx4 s[8:11], s[4:5], 0x8
	s_load_dwordx4 s[12:15], s[4:5], 0x20
	s_load_dword s1, s[4:5], 0x18
	v_ashrrev_i32_e32 v1, 31, v0
	v_not_b32_e32 v2, v0
	s_mov_b32 s6, 0
	v_lshlrev_b64 v[4:5], 2, v[0:1]
	v_not_b32_e32 v3, v1
	s_waitcnt lgkmcnt(0)
	s_mul_i32 s2, s0, s2
	v_add_co_u32 v2, vcc_lo, v2, s10
	v_add_co_ci_u32_e64 v3, null, s11, v3, vcc_lo
	v_add_co_u32 v4, vcc_lo, s14, v4
	v_add_co_ci_u32_e64 v5, null, s15, v5, vcc_lo
	s_ashr_i32 s3, s2, 31
	s_lshl_b64 s[4:5], s[2:3], 2
	s_inst_prefetch 0x1
	s_branch .LBB12_3
	.p2align	6
.LBB12_2:                               ;   in Loop: Header=BB12_3 Depth=1
	s_or_b32 exec_lo, exec_lo, s0
	v_add_co_u32 v0, vcc_lo, v0, s2
	v_add_co_ci_u32_e64 v1, null, s3, v1, vcc_lo
	v_sub_co_u32 v2, vcc_lo, v2, s2
	global_store_dword v[4:5], v6, off
	v_subrev_co_ci_u32_e64 v3, null, s3, v3, vcc_lo
	v_cmp_le_i32_e32 vcc_lo, s7, v0
	v_add_co_u32 v4, s0, v4, s4
	v_add_co_ci_u32_e64 v5, null, s5, v5, s0
	s_or_b32 s6, vcc_lo, s6
	s_andn2_b32 exec_lo, exec_lo, s6
	s_cbranch_execz .LBB12_7
.LBB12_3:                               ; =>This Inner Loop Header: Depth=1
	s_mov_b32 s0, exec_lo
                                        ; implicit-def: $vgpr6
	v_cmpx_le_i64_e64 s[12:13], v[0:1]
	s_xor_b32 s0, exec_lo, s0
	s_cbranch_execz .LBB12_5
; %bb.4:                                ;   in Loop: Header=BB12_3 Depth=1
	v_xor_b32_e32 v6, v2, v3
	v_ffbh_i32_e32 v7, v3
	v_ashrrev_i32_e32 v6, 31, v6
	v_add_nc_u32_e32 v7, -1, v7
	v_add_nc_u32_e32 v6, 32, v6
	v_min_u32_e32 v8, v7, v6
	v_lshlrev_b64 v[6:7], v8, v[2:3]
	v_min_u32_e32 v6, 1, v6
	v_or_b32_e32 v6, v7, v6
	v_sub_nc_u32_e32 v7, 32, v8
	v_cvt_f32_i32_e32 v6, v6
	v_ldexp_f32 v6, v6, v7
	v_fma_f32 v6, -s1, v6, s9
.LBB12_5:                               ;   in Loop: Header=BB12_3 Depth=1
	s_andn2_saveexec_b32 s0, s0
	s_cbranch_execz .LBB12_2
; %bb.6:                                ;   in Loop: Header=BB12_3 Depth=1
	v_cvt_f32_i32_e32 v6, v0
	v_fma_f32 v6, s1, v6, s8
	s_branch .LBB12_2
.LBB12_7:
	s_inst_prefetch 0x2
	s_endpgm
	.section	.rodata,"a",@progbits
	.p2align	6, 0x0
	.amdhsa_kernel _ZN12_GLOBAL__N_141elementwise_kernel_with_index_grid_strideIiZZZN2at6native17linspace_cuda_outERKN3c106ScalarES6_lRNS1_6TensorEENKUlvE0_clEvENKUlvE0_clEvEUllE_EEvT_T0_PN15function_traitsISD_E11result_typeE
		.amdhsa_group_segment_fixed_size 0
		.amdhsa_private_segment_fixed_size 0
		.amdhsa_kernarg_size 304
		.amdhsa_user_sgpr_count 6
		.amdhsa_user_sgpr_private_segment_buffer 1
		.amdhsa_user_sgpr_dispatch_ptr 0
		.amdhsa_user_sgpr_queue_ptr 0
		.amdhsa_user_sgpr_kernarg_segment_ptr 1
		.amdhsa_user_sgpr_dispatch_id 0
		.amdhsa_user_sgpr_flat_scratch_init 0
		.amdhsa_user_sgpr_private_segment_size 0
		.amdhsa_wavefront_size32 1
		.amdhsa_uses_dynamic_stack 0
		.amdhsa_system_sgpr_private_segment_wavefront_offset 0
		.amdhsa_system_sgpr_workgroup_id_x 1
		.amdhsa_system_sgpr_workgroup_id_y 0
		.amdhsa_system_sgpr_workgroup_id_z 0
		.amdhsa_system_sgpr_workgroup_info 0
		.amdhsa_system_vgpr_workitem_id 0
		.amdhsa_next_free_vgpr 9
		.amdhsa_next_free_sgpr 16
		.amdhsa_reserve_vcc 1
		.amdhsa_reserve_flat_scratch 0
		.amdhsa_float_round_mode_32 0
		.amdhsa_float_round_mode_16_64 0
		.amdhsa_float_denorm_mode_32 3
		.amdhsa_float_denorm_mode_16_64 3
		.amdhsa_dx10_clamp 1
		.amdhsa_ieee_mode 1
		.amdhsa_fp16_overflow 0
		.amdhsa_workgroup_processor_mode 1
		.amdhsa_memory_ordered 1
		.amdhsa_forward_progress 1
		.amdhsa_shared_vgpr_count 0
		.amdhsa_exception_fp_ieee_invalid_op 0
		.amdhsa_exception_fp_denorm_src 0
		.amdhsa_exception_fp_ieee_div_zero 0
		.amdhsa_exception_fp_ieee_overflow 0
		.amdhsa_exception_fp_ieee_underflow 0
		.amdhsa_exception_fp_ieee_inexact 0
		.amdhsa_exception_int_div_zero 0
	.end_amdhsa_kernel
	.section	.text._ZN12_GLOBAL__N_141elementwise_kernel_with_index_grid_strideIiZZZN2at6native17linspace_cuda_outERKN3c106ScalarES6_lRNS1_6TensorEENKUlvE0_clEvENKUlvE0_clEvEUllE_EEvT_T0_PN15function_traitsISD_E11result_typeE,"axG",@progbits,_ZN12_GLOBAL__N_141elementwise_kernel_with_index_grid_strideIiZZZN2at6native17linspace_cuda_outERKN3c106ScalarES6_lRNS1_6TensorEENKUlvE0_clEvENKUlvE0_clEvEUllE_EEvT_T0_PN15function_traitsISD_E11result_typeE,comdat
.Lfunc_end12:
	.size	_ZN12_GLOBAL__N_141elementwise_kernel_with_index_grid_strideIiZZZN2at6native17linspace_cuda_outERKN3c106ScalarES6_lRNS1_6TensorEENKUlvE0_clEvENKUlvE0_clEvEUllE_EEvT_T0_PN15function_traitsISD_E11result_typeE, .Lfunc_end12-_ZN12_GLOBAL__N_141elementwise_kernel_with_index_grid_strideIiZZZN2at6native17linspace_cuda_outERKN3c106ScalarES6_lRNS1_6TensorEENKUlvE0_clEvENKUlvE0_clEvEUllE_EEvT_T0_PN15function_traitsISD_E11result_typeE
                                        ; -- End function
	.set _ZN12_GLOBAL__N_141elementwise_kernel_with_index_grid_strideIiZZZN2at6native17linspace_cuda_outERKN3c106ScalarES6_lRNS1_6TensorEENKUlvE0_clEvENKUlvE0_clEvEUllE_EEvT_T0_PN15function_traitsISD_E11result_typeE.num_vgpr, 9
	.set _ZN12_GLOBAL__N_141elementwise_kernel_with_index_grid_strideIiZZZN2at6native17linspace_cuda_outERKN3c106ScalarES6_lRNS1_6TensorEENKUlvE0_clEvENKUlvE0_clEvEUllE_EEvT_T0_PN15function_traitsISD_E11result_typeE.num_agpr, 0
	.set _ZN12_GLOBAL__N_141elementwise_kernel_with_index_grid_strideIiZZZN2at6native17linspace_cuda_outERKN3c106ScalarES6_lRNS1_6TensorEENKUlvE0_clEvENKUlvE0_clEvEUllE_EEvT_T0_PN15function_traitsISD_E11result_typeE.numbered_sgpr, 16
	.set _ZN12_GLOBAL__N_141elementwise_kernel_with_index_grid_strideIiZZZN2at6native17linspace_cuda_outERKN3c106ScalarES6_lRNS1_6TensorEENKUlvE0_clEvENKUlvE0_clEvEUllE_EEvT_T0_PN15function_traitsISD_E11result_typeE.num_named_barrier, 0
	.set _ZN12_GLOBAL__N_141elementwise_kernel_with_index_grid_strideIiZZZN2at6native17linspace_cuda_outERKN3c106ScalarES6_lRNS1_6TensorEENKUlvE0_clEvENKUlvE0_clEvEUllE_EEvT_T0_PN15function_traitsISD_E11result_typeE.private_seg_size, 0
	.set _ZN12_GLOBAL__N_141elementwise_kernel_with_index_grid_strideIiZZZN2at6native17linspace_cuda_outERKN3c106ScalarES6_lRNS1_6TensorEENKUlvE0_clEvENKUlvE0_clEvEUllE_EEvT_T0_PN15function_traitsISD_E11result_typeE.uses_vcc, 1
	.set _ZN12_GLOBAL__N_141elementwise_kernel_with_index_grid_strideIiZZZN2at6native17linspace_cuda_outERKN3c106ScalarES6_lRNS1_6TensorEENKUlvE0_clEvENKUlvE0_clEvEUllE_EEvT_T0_PN15function_traitsISD_E11result_typeE.uses_flat_scratch, 0
	.set _ZN12_GLOBAL__N_141elementwise_kernel_with_index_grid_strideIiZZZN2at6native17linspace_cuda_outERKN3c106ScalarES6_lRNS1_6TensorEENKUlvE0_clEvENKUlvE0_clEvEUllE_EEvT_T0_PN15function_traitsISD_E11result_typeE.has_dyn_sized_stack, 0
	.set _ZN12_GLOBAL__N_141elementwise_kernel_with_index_grid_strideIiZZZN2at6native17linspace_cuda_outERKN3c106ScalarES6_lRNS1_6TensorEENKUlvE0_clEvENKUlvE0_clEvEUllE_EEvT_T0_PN15function_traitsISD_E11result_typeE.has_recursion, 0
	.set _ZN12_GLOBAL__N_141elementwise_kernel_with_index_grid_strideIiZZZN2at6native17linspace_cuda_outERKN3c106ScalarES6_lRNS1_6TensorEENKUlvE0_clEvENKUlvE0_clEvEUllE_EEvT_T0_PN15function_traitsISD_E11result_typeE.has_indirect_call, 0
	.section	.AMDGPU.csdata,"",@progbits
; Kernel info:
; codeLenInByte = 384
; TotalNumSgprs: 18
; NumVgprs: 9
; ScratchSize: 0
; MemoryBound: 0
; FloatMode: 240
; IeeeMode: 1
; LDSByteSize: 0 bytes/workgroup (compile time only)
; SGPRBlocks: 0
; VGPRBlocks: 1
; NumSGPRsForWavesPerEU: 18
; NumVGPRsForWavesPerEU: 9
; Occupancy: 16
; WaveLimiterHint : 0
; COMPUTE_PGM_RSRC2:SCRATCH_EN: 0
; COMPUTE_PGM_RSRC2:USER_SGPR: 6
; COMPUTE_PGM_RSRC2:TRAP_HANDLER: 0
; COMPUTE_PGM_RSRC2:TGID_X_EN: 1
; COMPUTE_PGM_RSRC2:TGID_Y_EN: 0
; COMPUTE_PGM_RSRC2:TGID_Z_EN: 0
; COMPUTE_PGM_RSRC2:TIDIG_COMP_CNT: 0
	.section	.text._ZN12_GLOBAL__N_141elementwise_kernel_with_index_grid_strideIlZZZN2at6native17linspace_cuda_outERKN3c106ScalarES6_lRNS1_6TensorEENKUlvE0_clEvENKUlvE0_clEvEUllE_EEvT_T0_PN15function_traitsISD_E11result_typeE,"axG",@progbits,_ZN12_GLOBAL__N_141elementwise_kernel_with_index_grid_strideIlZZZN2at6native17linspace_cuda_outERKN3c106ScalarES6_lRNS1_6TensorEENKUlvE0_clEvENKUlvE0_clEvEUllE_EEvT_T0_PN15function_traitsISD_E11result_typeE,comdat
	.globl	_ZN12_GLOBAL__N_141elementwise_kernel_with_index_grid_strideIlZZZN2at6native17linspace_cuda_outERKN3c106ScalarES6_lRNS1_6TensorEENKUlvE0_clEvENKUlvE0_clEvEUllE_EEvT_T0_PN15function_traitsISD_E11result_typeE ; -- Begin function _ZN12_GLOBAL__N_141elementwise_kernel_with_index_grid_strideIlZZZN2at6native17linspace_cuda_outERKN3c106ScalarES6_lRNS1_6TensorEENKUlvE0_clEvENKUlvE0_clEvEUllE_EEvT_T0_PN15function_traitsISD_E11result_typeE
	.p2align	8
	.type	_ZN12_GLOBAL__N_141elementwise_kernel_with_index_grid_strideIlZZZN2at6native17linspace_cuda_outERKN3c106ScalarES6_lRNS1_6TensorEENKUlvE0_clEvENKUlvE0_clEvEUllE_EEvT_T0_PN15function_traitsISD_E11result_typeE,@function
_ZN12_GLOBAL__N_141elementwise_kernel_with_index_grid_strideIlZZZN2at6native17linspace_cuda_outERKN3c106ScalarES6_lRNS1_6TensorEENKUlvE0_clEvENKUlvE0_clEvEUllE_EEvT_T0_PN15function_traitsISD_E11result_typeE: ; @_ZN12_GLOBAL__N_141elementwise_kernel_with_index_grid_strideIlZZZN2at6native17linspace_cuda_outERKN3c106ScalarES6_lRNS1_6TensorEENKUlvE0_clEvENKUlvE0_clEvEUllE_EEvT_T0_PN15function_traitsISD_E11result_typeE
; %bb.0:
	s_clause 0x1
	s_load_dword s7, s[4:5], 0x3c
	s_load_dwordx2 s[2:3], s[4:5], 0x0
	v_mov_b32_e32 v1, 0
	s_add_u32 s0, s4, 48
	s_addc_u32 s1, s5, 0
	s_waitcnt lgkmcnt(0)
	s_and_b32 s7, s7, 0xffff
	v_mad_u64_u32 v[0:1], null, s7, s6, v[0:1]
	s_mov_b32 s6, exec_lo
	v_cmpx_gt_i64_e64 s[2:3], v[0:1]
	s_cbranch_execz .LBB13_7
; %bb.1:
	s_load_dword s0, s[0:1], 0x0
	s_clause 0x2
	s_load_dwordx4 s[8:11], s[4:5], 0x8
	s_load_dwordx4 s[12:15], s[4:5], 0x20
	s_load_dword s1, s[4:5], 0x18
	v_not_b32_e32 v2, v0
	v_lshlrev_b64 v[4:5], 2, v[0:1]
	v_not_b32_e32 v3, v1
	s_waitcnt lgkmcnt(0)
	s_mul_hi_u32 s5, s7, s0
	v_add_co_u32 v2, vcc_lo, v2, s10
	v_add_co_ci_u32_e64 v3, null, s11, v3, vcc_lo
	v_add_co_u32 v4, vcc_lo, s14, v4
	v_add_co_ci_u32_e64 v5, null, s15, v5, vcc_lo
	s_mul_i32 s4, s7, s0
	s_mov_b32 s10, 0
	s_lshl_b64 s[6:7], s[4:5], 2
	s_branch .LBB13_3
.LBB13_2:                               ;   in Loop: Header=BB13_3 Depth=1
	s_or_b32 exec_lo, exec_lo, s0
	v_add_co_u32 v0, vcc_lo, v0, s4
	v_add_co_ci_u32_e64 v1, null, s5, v1, vcc_lo
	v_sub_co_u32 v2, vcc_lo, v2, s4
	v_subrev_co_ci_u32_e64 v3, null, s5, v3, vcc_lo
	v_cmp_le_i64_e32 vcc_lo, s[2:3], v[0:1]
	global_store_dword v[4:5], v6, off
	v_add_co_u32 v4, s0, v4, s6
	v_add_co_ci_u32_e64 v5, null, s7, v5, s0
	s_or_b32 s10, vcc_lo, s10
	s_andn2_b32 exec_lo, exec_lo, s10
	s_cbranch_execz .LBB13_7
.LBB13_3:                               ; =>This Inner Loop Header: Depth=1
	s_mov_b32 s0, exec_lo
                                        ; implicit-def: $vgpr6
	v_cmpx_le_i64_e64 s[12:13], v[0:1]
	s_xor_b32 s0, exec_lo, s0
	s_cbranch_execz .LBB13_5
; %bb.4:                                ;   in Loop: Header=BB13_3 Depth=1
	v_xor_b32_e32 v6, v2, v3
	v_ffbh_i32_e32 v7, v3
	v_ashrrev_i32_e32 v6, 31, v6
	v_add_nc_u32_e32 v7, -1, v7
	v_add_nc_u32_e32 v6, 32, v6
	v_min_u32_e32 v8, v7, v6
	v_lshlrev_b64 v[6:7], v8, v[2:3]
	v_min_u32_e32 v6, 1, v6
	v_or_b32_e32 v6, v7, v6
	v_sub_nc_u32_e32 v7, 32, v8
	v_cvt_f32_i32_e32 v6, v6
	v_ldexp_f32 v6, v6, v7
	v_fma_f32 v6, -s1, v6, s9
.LBB13_5:                               ;   in Loop: Header=BB13_3 Depth=1
	s_andn2_saveexec_b32 s0, s0
	s_cbranch_execz .LBB13_2
; %bb.6:                                ;   in Loop: Header=BB13_3 Depth=1
	v_ffbh_u32_e32 v6, v1
	v_min_u32_e32 v8, 32, v6
	v_lshlrev_b64 v[6:7], v8, v[0:1]
	v_min_u32_e32 v6, 1, v6
	v_or_b32_e32 v6, v7, v6
	v_sub_nc_u32_e32 v7, 32, v8
	v_cvt_f32_u32_e32 v6, v6
	v_ldexp_f32 v6, v6, v7
	v_fma_f32 v6, s1, v6, s8
	s_branch .LBB13_2
.LBB13_7:
	s_endpgm
	.section	.rodata,"a",@progbits
	.p2align	6, 0x0
	.amdhsa_kernel _ZN12_GLOBAL__N_141elementwise_kernel_with_index_grid_strideIlZZZN2at6native17linspace_cuda_outERKN3c106ScalarES6_lRNS1_6TensorEENKUlvE0_clEvENKUlvE0_clEvEUllE_EEvT_T0_PN15function_traitsISD_E11result_typeE
		.amdhsa_group_segment_fixed_size 0
		.amdhsa_private_segment_fixed_size 0
		.amdhsa_kernarg_size 304
		.amdhsa_user_sgpr_count 6
		.amdhsa_user_sgpr_private_segment_buffer 1
		.amdhsa_user_sgpr_dispatch_ptr 0
		.amdhsa_user_sgpr_queue_ptr 0
		.amdhsa_user_sgpr_kernarg_segment_ptr 1
		.amdhsa_user_sgpr_dispatch_id 0
		.amdhsa_user_sgpr_flat_scratch_init 0
		.amdhsa_user_sgpr_private_segment_size 0
		.amdhsa_wavefront_size32 1
		.amdhsa_uses_dynamic_stack 0
		.amdhsa_system_sgpr_private_segment_wavefront_offset 0
		.amdhsa_system_sgpr_workgroup_id_x 1
		.amdhsa_system_sgpr_workgroup_id_y 0
		.amdhsa_system_sgpr_workgroup_id_z 0
		.amdhsa_system_sgpr_workgroup_info 0
		.amdhsa_system_vgpr_workitem_id 0
		.amdhsa_next_free_vgpr 9
		.amdhsa_next_free_sgpr 16
		.amdhsa_reserve_vcc 1
		.amdhsa_reserve_flat_scratch 0
		.amdhsa_float_round_mode_32 0
		.amdhsa_float_round_mode_16_64 0
		.amdhsa_float_denorm_mode_32 3
		.amdhsa_float_denorm_mode_16_64 3
		.amdhsa_dx10_clamp 1
		.amdhsa_ieee_mode 1
		.amdhsa_fp16_overflow 0
		.amdhsa_workgroup_processor_mode 1
		.amdhsa_memory_ordered 1
		.amdhsa_forward_progress 1
		.amdhsa_shared_vgpr_count 0
		.amdhsa_exception_fp_ieee_invalid_op 0
		.amdhsa_exception_fp_denorm_src 0
		.amdhsa_exception_fp_ieee_div_zero 0
		.amdhsa_exception_fp_ieee_overflow 0
		.amdhsa_exception_fp_ieee_underflow 0
		.amdhsa_exception_fp_ieee_inexact 0
		.amdhsa_exception_int_div_zero 0
	.end_amdhsa_kernel
	.section	.text._ZN12_GLOBAL__N_141elementwise_kernel_with_index_grid_strideIlZZZN2at6native17linspace_cuda_outERKN3c106ScalarES6_lRNS1_6TensorEENKUlvE0_clEvENKUlvE0_clEvEUllE_EEvT_T0_PN15function_traitsISD_E11result_typeE,"axG",@progbits,_ZN12_GLOBAL__N_141elementwise_kernel_with_index_grid_strideIlZZZN2at6native17linspace_cuda_outERKN3c106ScalarES6_lRNS1_6TensorEENKUlvE0_clEvENKUlvE0_clEvEUllE_EEvT_T0_PN15function_traitsISD_E11result_typeE,comdat
.Lfunc_end13:
	.size	_ZN12_GLOBAL__N_141elementwise_kernel_with_index_grid_strideIlZZZN2at6native17linspace_cuda_outERKN3c106ScalarES6_lRNS1_6TensorEENKUlvE0_clEvENKUlvE0_clEvEUllE_EEvT_T0_PN15function_traitsISD_E11result_typeE, .Lfunc_end13-_ZN12_GLOBAL__N_141elementwise_kernel_with_index_grid_strideIlZZZN2at6native17linspace_cuda_outERKN3c106ScalarES6_lRNS1_6TensorEENKUlvE0_clEvENKUlvE0_clEvEUllE_EEvT_T0_PN15function_traitsISD_E11result_typeE
                                        ; -- End function
	.set _ZN12_GLOBAL__N_141elementwise_kernel_with_index_grid_strideIlZZZN2at6native17linspace_cuda_outERKN3c106ScalarES6_lRNS1_6TensorEENKUlvE0_clEvENKUlvE0_clEvEUllE_EEvT_T0_PN15function_traitsISD_E11result_typeE.num_vgpr, 9
	.set _ZN12_GLOBAL__N_141elementwise_kernel_with_index_grid_strideIlZZZN2at6native17linspace_cuda_outERKN3c106ScalarES6_lRNS1_6TensorEENKUlvE0_clEvENKUlvE0_clEvEUllE_EEvT_T0_PN15function_traitsISD_E11result_typeE.num_agpr, 0
	.set _ZN12_GLOBAL__N_141elementwise_kernel_with_index_grid_strideIlZZZN2at6native17linspace_cuda_outERKN3c106ScalarES6_lRNS1_6TensorEENKUlvE0_clEvENKUlvE0_clEvEUllE_EEvT_T0_PN15function_traitsISD_E11result_typeE.numbered_sgpr, 16
	.set _ZN12_GLOBAL__N_141elementwise_kernel_with_index_grid_strideIlZZZN2at6native17linspace_cuda_outERKN3c106ScalarES6_lRNS1_6TensorEENKUlvE0_clEvENKUlvE0_clEvEUllE_EEvT_T0_PN15function_traitsISD_E11result_typeE.num_named_barrier, 0
	.set _ZN12_GLOBAL__N_141elementwise_kernel_with_index_grid_strideIlZZZN2at6native17linspace_cuda_outERKN3c106ScalarES6_lRNS1_6TensorEENKUlvE0_clEvENKUlvE0_clEvEUllE_EEvT_T0_PN15function_traitsISD_E11result_typeE.private_seg_size, 0
	.set _ZN12_GLOBAL__N_141elementwise_kernel_with_index_grid_strideIlZZZN2at6native17linspace_cuda_outERKN3c106ScalarES6_lRNS1_6TensorEENKUlvE0_clEvENKUlvE0_clEvEUllE_EEvT_T0_PN15function_traitsISD_E11result_typeE.uses_vcc, 1
	.set _ZN12_GLOBAL__N_141elementwise_kernel_with_index_grid_strideIlZZZN2at6native17linspace_cuda_outERKN3c106ScalarES6_lRNS1_6TensorEENKUlvE0_clEvENKUlvE0_clEvEUllE_EEvT_T0_PN15function_traitsISD_E11result_typeE.uses_flat_scratch, 0
	.set _ZN12_GLOBAL__N_141elementwise_kernel_with_index_grid_strideIlZZZN2at6native17linspace_cuda_outERKN3c106ScalarES6_lRNS1_6TensorEENKUlvE0_clEvENKUlvE0_clEvEUllE_EEvT_T0_PN15function_traitsISD_E11result_typeE.has_dyn_sized_stack, 0
	.set _ZN12_GLOBAL__N_141elementwise_kernel_with_index_grid_strideIlZZZN2at6native17linspace_cuda_outERKN3c106ScalarES6_lRNS1_6TensorEENKUlvE0_clEvENKUlvE0_clEvEUllE_EEvT_T0_PN15function_traitsISD_E11result_typeE.has_recursion, 0
	.set _ZN12_GLOBAL__N_141elementwise_kernel_with_index_grid_strideIlZZZN2at6native17linspace_cuda_outERKN3c106ScalarES6_lRNS1_6TensorEENKUlvE0_clEvENKUlvE0_clEvEUllE_EEvT_T0_PN15function_traitsISD_E11result_typeE.has_indirect_call, 0
	.section	.AMDGPU.csdata,"",@progbits
; Kernel info:
; codeLenInByte = 400
; TotalNumSgprs: 18
; NumVgprs: 9
; ScratchSize: 0
; MemoryBound: 0
; FloatMode: 240
; IeeeMode: 1
; LDSByteSize: 0 bytes/workgroup (compile time only)
; SGPRBlocks: 0
; VGPRBlocks: 1
; NumSGPRsForWavesPerEU: 18
; NumVGPRsForWavesPerEU: 9
; Occupancy: 16
; WaveLimiterHint : 0
; COMPUTE_PGM_RSRC2:SCRATCH_EN: 0
; COMPUTE_PGM_RSRC2:USER_SGPR: 6
; COMPUTE_PGM_RSRC2:TRAP_HANDLER: 0
; COMPUTE_PGM_RSRC2:TGID_X_EN: 1
; COMPUTE_PGM_RSRC2:TGID_Y_EN: 0
; COMPUTE_PGM_RSRC2:TGID_Z_EN: 0
; COMPUTE_PGM_RSRC2:TIDIG_COMP_CNT: 0
	.section	.text._ZN12_GLOBAL__N_141elementwise_kernel_with_index_grid_strideIiZZZN2at6native17linspace_cuda_outERKN3c106ScalarES6_lRNS1_6TensorEENKUlvE0_clEvENKUlvE1_clEvEUllE_EEvT_T0_PN15function_traitsISD_E11result_typeE,"axG",@progbits,_ZN12_GLOBAL__N_141elementwise_kernel_with_index_grid_strideIiZZZN2at6native17linspace_cuda_outERKN3c106ScalarES6_lRNS1_6TensorEENKUlvE0_clEvENKUlvE1_clEvEUllE_EEvT_T0_PN15function_traitsISD_E11result_typeE,comdat
	.globl	_ZN12_GLOBAL__N_141elementwise_kernel_with_index_grid_strideIiZZZN2at6native17linspace_cuda_outERKN3c106ScalarES6_lRNS1_6TensorEENKUlvE0_clEvENKUlvE1_clEvEUllE_EEvT_T0_PN15function_traitsISD_E11result_typeE ; -- Begin function _ZN12_GLOBAL__N_141elementwise_kernel_with_index_grid_strideIiZZZN2at6native17linspace_cuda_outERKN3c106ScalarES6_lRNS1_6TensorEENKUlvE0_clEvENKUlvE1_clEvEUllE_EEvT_T0_PN15function_traitsISD_E11result_typeE
	.p2align	8
	.type	_ZN12_GLOBAL__N_141elementwise_kernel_with_index_grid_strideIiZZZN2at6native17linspace_cuda_outERKN3c106ScalarES6_lRNS1_6TensorEENKUlvE0_clEvENKUlvE1_clEvEUllE_EEvT_T0_PN15function_traitsISD_E11result_typeE,@function
_ZN12_GLOBAL__N_141elementwise_kernel_with_index_grid_strideIiZZZN2at6native17linspace_cuda_outERKN3c106ScalarES6_lRNS1_6TensorEENKUlvE0_clEvENKUlvE1_clEvEUllE_EEvT_T0_PN15function_traitsISD_E11result_typeE: ; @_ZN12_GLOBAL__N_141elementwise_kernel_with_index_grid_strideIiZZZN2at6native17linspace_cuda_outERKN3c106ScalarES6_lRNS1_6TensorEENKUlvE0_clEvENKUlvE1_clEvEUllE_EEvT_T0_PN15function_traitsISD_E11result_typeE
; %bb.0:
	s_clause 0x1
	s_load_dword s2, s[4:5], 0x74
	s_load_dword s20, s[4:5], 0x0
	s_add_u32 s0, s4, 0x68
	s_addc_u32 s1, s5, 0
	s_waitcnt lgkmcnt(0)
	s_and_b32 s7, s2, 0xffff
	s_mov_b32 s2, exec_lo
	v_mad_u64_u32 v[4:5], null, s6, s7, v[0:1]
	v_cmpx_gt_i32_e64 s20, v4
	s_cbranch_execz .LBB14_7
; %bb.1:
	s_load_dword s6, s[0:1], 0x0
	s_clause 0x1
	s_load_dwordx2 s[0:1], s[4:5], 0x30
	s_load_dwordx2 s[22:23], s[4:5], 0x60
	v_ashrrev_i32_e32 v5, 31, v4
	s_clause 0x2
	s_load_dwordx8 s[8:15], s[4:5], 0x10
	s_load_dwordx4 s[16:19], s[4:5], 0x40
	s_load_dwordx2 s[2:3], s[4:5], 0x50
	v_not_b32_e32 v2, v4
	v_lshlrev_b64 v[0:1], 4, v[4:5]
	v_not_b32_e32 v3, v5
	s_waitcnt lgkmcnt(0)
	s_mul_i32 s4, s6, s7
	v_add_co_u32 v8, vcc_lo, v2, s0
	v_add_co_ci_u32_e64 v9, null, s1, v3, vcc_lo
	v_add_co_u32 v0, vcc_lo, s22, v0
	v_add_co_ci_u32_e64 v1, null, s23, v1, vcc_lo
	s_ashr_i32 s5, s4, 31
	v_add_co_u32 v6, vcc_lo, v0, 8
	v_add_co_ci_u32_e64 v7, null, 0, v1, vcc_lo
	s_lshl_b64 s[6:7], s[4:5], 4
	s_mov_b32 s1, 0
	s_inst_prefetch 0x1
	s_branch .LBB14_3
	.p2align	6
.LBB14_2:                               ;   in Loop: Header=BB14_3 Depth=1
	s_or_b32 exec_lo, exec_lo, s0
	v_add_co_u32 v4, vcc_lo, v4, s4
	v_add_co_ci_u32_e64 v5, null, s5, v5, vcc_lo
	v_sub_co_u32 v8, vcc_lo, v8, s4
	global_store_dwordx4 v[6:7], v[0:3], off offset:-8
	v_subrev_co_ci_u32_e64 v9, null, s5, v9, vcc_lo
	v_cmp_le_i32_e32 vcc_lo, s20, v4
	v_add_co_u32 v6, s0, v6, s6
	v_add_co_ci_u32_e64 v7, null, s7, v7, s0
	s_or_b32 s1, vcc_lo, s1
	s_andn2_b32 exec_lo, exec_lo, s1
	s_cbranch_execz .LBB14_7
.LBB14_3:                               ; =>This Inner Loop Header: Depth=1
	s_mov_b32 s0, exec_lo
                                        ; implicit-def: $vgpr2_vgpr3
	v_cmpx_le_i64_e64 s[2:3], v[4:5]
	s_xor_b32 s0, exec_lo, s0
	s_cbranch_execz .LBB14_5
; %bb.4:                                ;   in Loop: Header=BB14_3 Depth=1
	v_cvt_f64_i32_e32 v[0:1], v9
	v_cvt_f64_u32_e32 v[2:3], v8
	v_ldexp_f64 v[0:1], v[0:1], 32
	v_add_f64 v[2:3], v[0:1], v[2:3]
	v_fma_f64 v[0:1], -s[16:17], v[2:3], s[12:13]
	v_fma_f64 v[2:3], -s[18:19], v[2:3], s[14:15]
.LBB14_5:                               ;   in Loop: Header=BB14_3 Depth=1
	s_andn2_saveexec_b32 s0, s0
	s_cbranch_execz .LBB14_2
; %bb.6:                                ;   in Loop: Header=BB14_3 Depth=1
	v_cvt_f64_i32_e32 v[2:3], v4
	v_fma_f64 v[0:1], s[16:17], v[2:3], s[8:9]
	v_fma_f64 v[2:3], s[18:19], v[2:3], s[10:11]
	s_branch .LBB14_2
.LBB14_7:
	s_inst_prefetch 0x2
	s_endpgm
	.section	.rodata,"a",@progbits
	.p2align	6, 0x0
	.amdhsa_kernel _ZN12_GLOBAL__N_141elementwise_kernel_with_index_grid_strideIiZZZN2at6native17linspace_cuda_outERKN3c106ScalarES6_lRNS1_6TensorEENKUlvE0_clEvENKUlvE1_clEvEUllE_EEvT_T0_PN15function_traitsISD_E11result_typeE
		.amdhsa_group_segment_fixed_size 0
		.amdhsa_private_segment_fixed_size 0
		.amdhsa_kernarg_size 360
		.amdhsa_user_sgpr_count 6
		.amdhsa_user_sgpr_private_segment_buffer 1
		.amdhsa_user_sgpr_dispatch_ptr 0
		.amdhsa_user_sgpr_queue_ptr 0
		.amdhsa_user_sgpr_kernarg_segment_ptr 1
		.amdhsa_user_sgpr_dispatch_id 0
		.amdhsa_user_sgpr_flat_scratch_init 0
		.amdhsa_user_sgpr_private_segment_size 0
		.amdhsa_wavefront_size32 1
		.amdhsa_uses_dynamic_stack 0
		.amdhsa_system_sgpr_private_segment_wavefront_offset 0
		.amdhsa_system_sgpr_workgroup_id_x 1
		.amdhsa_system_sgpr_workgroup_id_y 0
		.amdhsa_system_sgpr_workgroup_id_z 0
		.amdhsa_system_sgpr_workgroup_info 0
		.amdhsa_system_vgpr_workitem_id 0
		.amdhsa_next_free_vgpr 10
		.amdhsa_next_free_sgpr 24
		.amdhsa_reserve_vcc 1
		.amdhsa_reserve_flat_scratch 0
		.amdhsa_float_round_mode_32 0
		.amdhsa_float_round_mode_16_64 0
		.amdhsa_float_denorm_mode_32 3
		.amdhsa_float_denorm_mode_16_64 3
		.amdhsa_dx10_clamp 1
		.amdhsa_ieee_mode 1
		.amdhsa_fp16_overflow 0
		.amdhsa_workgroup_processor_mode 1
		.amdhsa_memory_ordered 1
		.amdhsa_forward_progress 1
		.amdhsa_shared_vgpr_count 0
		.amdhsa_exception_fp_ieee_invalid_op 0
		.amdhsa_exception_fp_denorm_src 0
		.amdhsa_exception_fp_ieee_div_zero 0
		.amdhsa_exception_fp_ieee_overflow 0
		.amdhsa_exception_fp_ieee_underflow 0
		.amdhsa_exception_fp_ieee_inexact 0
		.amdhsa_exception_int_div_zero 0
	.end_amdhsa_kernel
	.section	.text._ZN12_GLOBAL__N_141elementwise_kernel_with_index_grid_strideIiZZZN2at6native17linspace_cuda_outERKN3c106ScalarES6_lRNS1_6TensorEENKUlvE0_clEvENKUlvE1_clEvEUllE_EEvT_T0_PN15function_traitsISD_E11result_typeE,"axG",@progbits,_ZN12_GLOBAL__N_141elementwise_kernel_with_index_grid_strideIiZZZN2at6native17linspace_cuda_outERKN3c106ScalarES6_lRNS1_6TensorEENKUlvE0_clEvENKUlvE1_clEvEUllE_EEvT_T0_PN15function_traitsISD_E11result_typeE,comdat
.Lfunc_end14:
	.size	_ZN12_GLOBAL__N_141elementwise_kernel_with_index_grid_strideIiZZZN2at6native17linspace_cuda_outERKN3c106ScalarES6_lRNS1_6TensorEENKUlvE0_clEvENKUlvE1_clEvEUllE_EEvT_T0_PN15function_traitsISD_E11result_typeE, .Lfunc_end14-_ZN12_GLOBAL__N_141elementwise_kernel_with_index_grid_strideIiZZZN2at6native17linspace_cuda_outERKN3c106ScalarES6_lRNS1_6TensorEENKUlvE0_clEvENKUlvE1_clEvEUllE_EEvT_T0_PN15function_traitsISD_E11result_typeE
                                        ; -- End function
	.set _ZN12_GLOBAL__N_141elementwise_kernel_with_index_grid_strideIiZZZN2at6native17linspace_cuda_outERKN3c106ScalarES6_lRNS1_6TensorEENKUlvE0_clEvENKUlvE1_clEvEUllE_EEvT_T0_PN15function_traitsISD_E11result_typeE.num_vgpr, 10
	.set _ZN12_GLOBAL__N_141elementwise_kernel_with_index_grid_strideIiZZZN2at6native17linspace_cuda_outERKN3c106ScalarES6_lRNS1_6TensorEENKUlvE0_clEvENKUlvE1_clEvEUllE_EEvT_T0_PN15function_traitsISD_E11result_typeE.num_agpr, 0
	.set _ZN12_GLOBAL__N_141elementwise_kernel_with_index_grid_strideIiZZZN2at6native17linspace_cuda_outERKN3c106ScalarES6_lRNS1_6TensorEENKUlvE0_clEvENKUlvE1_clEvEUllE_EEvT_T0_PN15function_traitsISD_E11result_typeE.numbered_sgpr, 24
	.set _ZN12_GLOBAL__N_141elementwise_kernel_with_index_grid_strideIiZZZN2at6native17linspace_cuda_outERKN3c106ScalarES6_lRNS1_6TensorEENKUlvE0_clEvENKUlvE1_clEvEUllE_EEvT_T0_PN15function_traitsISD_E11result_typeE.num_named_barrier, 0
	.set _ZN12_GLOBAL__N_141elementwise_kernel_with_index_grid_strideIiZZZN2at6native17linspace_cuda_outERKN3c106ScalarES6_lRNS1_6TensorEENKUlvE0_clEvENKUlvE1_clEvEUllE_EEvT_T0_PN15function_traitsISD_E11result_typeE.private_seg_size, 0
	.set _ZN12_GLOBAL__N_141elementwise_kernel_with_index_grid_strideIiZZZN2at6native17linspace_cuda_outERKN3c106ScalarES6_lRNS1_6TensorEENKUlvE0_clEvENKUlvE1_clEvEUllE_EEvT_T0_PN15function_traitsISD_E11result_typeE.uses_vcc, 1
	.set _ZN12_GLOBAL__N_141elementwise_kernel_with_index_grid_strideIiZZZN2at6native17linspace_cuda_outERKN3c106ScalarES6_lRNS1_6TensorEENKUlvE0_clEvENKUlvE1_clEvEUllE_EEvT_T0_PN15function_traitsISD_E11result_typeE.uses_flat_scratch, 0
	.set _ZN12_GLOBAL__N_141elementwise_kernel_with_index_grid_strideIiZZZN2at6native17linspace_cuda_outERKN3c106ScalarES6_lRNS1_6TensorEENKUlvE0_clEvENKUlvE1_clEvEUllE_EEvT_T0_PN15function_traitsISD_E11result_typeE.has_dyn_sized_stack, 0
	.set _ZN12_GLOBAL__N_141elementwise_kernel_with_index_grid_strideIiZZZN2at6native17linspace_cuda_outERKN3c106ScalarES6_lRNS1_6TensorEENKUlvE0_clEvENKUlvE1_clEvEUllE_EEvT_T0_PN15function_traitsISD_E11result_typeE.has_recursion, 0
	.set _ZN12_GLOBAL__N_141elementwise_kernel_with_index_grid_strideIiZZZN2at6native17linspace_cuda_outERKN3c106ScalarES6_lRNS1_6TensorEENKUlvE0_clEvENKUlvE1_clEvEUllE_EEvT_T0_PN15function_traitsISD_E11result_typeE.has_indirect_call, 0
	.section	.AMDGPU.csdata,"",@progbits
; Kernel info:
; codeLenInByte = 432
; TotalNumSgprs: 26
; NumVgprs: 10
; ScratchSize: 0
; MemoryBound: 0
; FloatMode: 240
; IeeeMode: 1
; LDSByteSize: 0 bytes/workgroup (compile time only)
; SGPRBlocks: 0
; VGPRBlocks: 1
; NumSGPRsForWavesPerEU: 26
; NumVGPRsForWavesPerEU: 10
; Occupancy: 16
; WaveLimiterHint : 1
; COMPUTE_PGM_RSRC2:SCRATCH_EN: 0
; COMPUTE_PGM_RSRC2:USER_SGPR: 6
; COMPUTE_PGM_RSRC2:TRAP_HANDLER: 0
; COMPUTE_PGM_RSRC2:TGID_X_EN: 1
; COMPUTE_PGM_RSRC2:TGID_Y_EN: 0
; COMPUTE_PGM_RSRC2:TGID_Z_EN: 0
; COMPUTE_PGM_RSRC2:TIDIG_COMP_CNT: 0
	.section	.text._ZN12_GLOBAL__N_141elementwise_kernel_with_index_grid_strideIlZZZN2at6native17linspace_cuda_outERKN3c106ScalarES6_lRNS1_6TensorEENKUlvE0_clEvENKUlvE1_clEvEUllE_EEvT_T0_PN15function_traitsISD_E11result_typeE,"axG",@progbits,_ZN12_GLOBAL__N_141elementwise_kernel_with_index_grid_strideIlZZZN2at6native17linspace_cuda_outERKN3c106ScalarES6_lRNS1_6TensorEENKUlvE0_clEvENKUlvE1_clEvEUllE_EEvT_T0_PN15function_traitsISD_E11result_typeE,comdat
	.globl	_ZN12_GLOBAL__N_141elementwise_kernel_with_index_grid_strideIlZZZN2at6native17linspace_cuda_outERKN3c106ScalarES6_lRNS1_6TensorEENKUlvE0_clEvENKUlvE1_clEvEUllE_EEvT_T0_PN15function_traitsISD_E11result_typeE ; -- Begin function _ZN12_GLOBAL__N_141elementwise_kernel_with_index_grid_strideIlZZZN2at6native17linspace_cuda_outERKN3c106ScalarES6_lRNS1_6TensorEENKUlvE0_clEvENKUlvE1_clEvEUllE_EEvT_T0_PN15function_traitsISD_E11result_typeE
	.p2align	8
	.type	_ZN12_GLOBAL__N_141elementwise_kernel_with_index_grid_strideIlZZZN2at6native17linspace_cuda_outERKN3c106ScalarES6_lRNS1_6TensorEENKUlvE0_clEvENKUlvE1_clEvEUllE_EEvT_T0_PN15function_traitsISD_E11result_typeE,@function
_ZN12_GLOBAL__N_141elementwise_kernel_with_index_grid_strideIlZZZN2at6native17linspace_cuda_outERKN3c106ScalarES6_lRNS1_6TensorEENKUlvE0_clEvENKUlvE1_clEvEUllE_EEvT_T0_PN15function_traitsISD_E11result_typeE: ; @_ZN12_GLOBAL__N_141elementwise_kernel_with_index_grid_strideIlZZZN2at6native17linspace_cuda_outERKN3c106ScalarES6_lRNS1_6TensorEENKUlvE0_clEvENKUlvE1_clEvEUllE_EEvT_T0_PN15function_traitsISD_E11result_typeE
; %bb.0:
	s_clause 0x1
	s_load_dword s7, s[4:5], 0x74
	s_load_dwordx2 s[2:3], s[4:5], 0x0
	v_mov_b32_e32 v1, 0
	s_add_u32 s0, s4, 0x68
	s_addc_u32 s1, s5, 0
	s_waitcnt lgkmcnt(0)
	s_and_b32 s20, s7, 0xffff
	v_mad_u64_u32 v[4:5], null, s20, s6, v[0:1]
	s_mov_b32 s6, exec_lo
	v_cmpx_gt_i64_e64 s[2:3], v[4:5]
	s_cbranch_execz .LBB15_7
; %bb.1:
	s_load_dword s6, s[0:1], 0x0
	s_clause 0x4
	s_load_dwordx2 s[0:1], s[4:5], 0x60
	s_load_dwordx2 s[22:23], s[4:5], 0x30
	s_load_dwordx8 s[8:15], s[4:5], 0x10
	s_load_dwordx4 s[16:19], s[4:5], 0x40
	s_load_dwordx2 s[4:5], s[4:5], 0x50
	v_lshlrev_b64 v[0:1], 4, v[4:5]
	v_not_b32_e32 v3, v4
	v_not_b32_e32 v2, v5
	s_waitcnt lgkmcnt(0)
	s_mul_hi_u32 s7, s20, s6
	v_add_co_u32 v0, vcc_lo, s0, v0
	v_add_co_ci_u32_e64 v1, null, s1, v1, vcc_lo
	v_add_co_u32 v8, vcc_lo, v3, s22
	v_add_co_ci_u32_e64 v9, null, s23, v2, vcc_lo
	;; [unrolled: 2-line block ×3, first 2 shown]
	s_mul_i32 s6, s20, s6
	s_mov_b32 s1, 0
	s_lshl_b64 s[20:21], s[6:7], 4
	s_inst_prefetch 0x1
	s_branch .LBB15_3
	.p2align	6
.LBB15_2:                               ;   in Loop: Header=BB15_3 Depth=1
	s_or_b32 exec_lo, exec_lo, s0
	v_add_co_u32 v4, vcc_lo, v4, s6
	v_add_co_ci_u32_e64 v5, null, s7, v5, vcc_lo
	v_sub_co_u32 v8, vcc_lo, v8, s6
	v_subrev_co_ci_u32_e64 v9, null, s7, v9, vcc_lo
	v_cmp_le_i64_e32 vcc_lo, s[2:3], v[4:5]
	global_store_dwordx4 v[6:7], v[0:3], off offset:-8
	v_add_co_u32 v6, s0, v6, s20
	v_add_co_ci_u32_e64 v7, null, s21, v7, s0
	s_or_b32 s1, vcc_lo, s1
	s_andn2_b32 exec_lo, exec_lo, s1
	s_cbranch_execz .LBB15_7
.LBB15_3:                               ; =>This Inner Loop Header: Depth=1
	s_mov_b32 s0, exec_lo
                                        ; implicit-def: $vgpr2_vgpr3
	v_cmpx_le_i64_e64 s[4:5], v[4:5]
	s_xor_b32 s0, exec_lo, s0
	s_cbranch_execz .LBB15_5
; %bb.4:                                ;   in Loop: Header=BB15_3 Depth=1
	v_cvt_f64_i32_e32 v[0:1], v9
	v_cvt_f64_u32_e32 v[2:3], v8
	v_ldexp_f64 v[0:1], v[0:1], 32
	v_add_f64 v[2:3], v[0:1], v[2:3]
	v_fma_f64 v[0:1], -s[16:17], v[2:3], s[12:13]
	v_fma_f64 v[2:3], -s[18:19], v[2:3], s[14:15]
.LBB15_5:                               ;   in Loop: Header=BB15_3 Depth=1
	s_andn2_saveexec_b32 s0, s0
	s_cbranch_execz .LBB15_2
; %bb.6:                                ;   in Loop: Header=BB15_3 Depth=1
	v_cvt_f64_u32_e32 v[0:1], v5
	v_cvt_f64_u32_e32 v[2:3], v4
	v_ldexp_f64 v[0:1], v[0:1], 32
	v_add_f64 v[2:3], v[0:1], v[2:3]
	v_fma_f64 v[0:1], s[16:17], v[2:3], s[8:9]
	v_fma_f64 v[2:3], s[18:19], v[2:3], s[10:11]
	s_branch .LBB15_2
.LBB15_7:
	s_inst_prefetch 0x2
	s_endpgm
	.section	.rodata,"a",@progbits
	.p2align	6, 0x0
	.amdhsa_kernel _ZN12_GLOBAL__N_141elementwise_kernel_with_index_grid_strideIlZZZN2at6native17linspace_cuda_outERKN3c106ScalarES6_lRNS1_6TensorEENKUlvE0_clEvENKUlvE1_clEvEUllE_EEvT_T0_PN15function_traitsISD_E11result_typeE
		.amdhsa_group_segment_fixed_size 0
		.amdhsa_private_segment_fixed_size 0
		.amdhsa_kernarg_size 360
		.amdhsa_user_sgpr_count 6
		.amdhsa_user_sgpr_private_segment_buffer 1
		.amdhsa_user_sgpr_dispatch_ptr 0
		.amdhsa_user_sgpr_queue_ptr 0
		.amdhsa_user_sgpr_kernarg_segment_ptr 1
		.amdhsa_user_sgpr_dispatch_id 0
		.amdhsa_user_sgpr_flat_scratch_init 0
		.amdhsa_user_sgpr_private_segment_size 0
		.amdhsa_wavefront_size32 1
		.amdhsa_uses_dynamic_stack 0
		.amdhsa_system_sgpr_private_segment_wavefront_offset 0
		.amdhsa_system_sgpr_workgroup_id_x 1
		.amdhsa_system_sgpr_workgroup_id_y 0
		.amdhsa_system_sgpr_workgroup_id_z 0
		.amdhsa_system_sgpr_workgroup_info 0
		.amdhsa_system_vgpr_workitem_id 0
		.amdhsa_next_free_vgpr 10
		.amdhsa_next_free_sgpr 24
		.amdhsa_reserve_vcc 1
		.amdhsa_reserve_flat_scratch 0
		.amdhsa_float_round_mode_32 0
		.amdhsa_float_round_mode_16_64 0
		.amdhsa_float_denorm_mode_32 3
		.amdhsa_float_denorm_mode_16_64 3
		.amdhsa_dx10_clamp 1
		.amdhsa_ieee_mode 1
		.amdhsa_fp16_overflow 0
		.amdhsa_workgroup_processor_mode 1
		.amdhsa_memory_ordered 1
		.amdhsa_forward_progress 1
		.amdhsa_shared_vgpr_count 0
		.amdhsa_exception_fp_ieee_invalid_op 0
		.amdhsa_exception_fp_denorm_src 0
		.amdhsa_exception_fp_ieee_div_zero 0
		.amdhsa_exception_fp_ieee_overflow 0
		.amdhsa_exception_fp_ieee_underflow 0
		.amdhsa_exception_fp_ieee_inexact 0
		.amdhsa_exception_int_div_zero 0
	.end_amdhsa_kernel
	.section	.text._ZN12_GLOBAL__N_141elementwise_kernel_with_index_grid_strideIlZZZN2at6native17linspace_cuda_outERKN3c106ScalarES6_lRNS1_6TensorEENKUlvE0_clEvENKUlvE1_clEvEUllE_EEvT_T0_PN15function_traitsISD_E11result_typeE,"axG",@progbits,_ZN12_GLOBAL__N_141elementwise_kernel_with_index_grid_strideIlZZZN2at6native17linspace_cuda_outERKN3c106ScalarES6_lRNS1_6TensorEENKUlvE0_clEvENKUlvE1_clEvEUllE_EEvT_T0_PN15function_traitsISD_E11result_typeE,comdat
.Lfunc_end15:
	.size	_ZN12_GLOBAL__N_141elementwise_kernel_with_index_grid_strideIlZZZN2at6native17linspace_cuda_outERKN3c106ScalarES6_lRNS1_6TensorEENKUlvE0_clEvENKUlvE1_clEvEUllE_EEvT_T0_PN15function_traitsISD_E11result_typeE, .Lfunc_end15-_ZN12_GLOBAL__N_141elementwise_kernel_with_index_grid_strideIlZZZN2at6native17linspace_cuda_outERKN3c106ScalarES6_lRNS1_6TensorEENKUlvE0_clEvENKUlvE1_clEvEUllE_EEvT_T0_PN15function_traitsISD_E11result_typeE
                                        ; -- End function
	.set _ZN12_GLOBAL__N_141elementwise_kernel_with_index_grid_strideIlZZZN2at6native17linspace_cuda_outERKN3c106ScalarES6_lRNS1_6TensorEENKUlvE0_clEvENKUlvE1_clEvEUllE_EEvT_T0_PN15function_traitsISD_E11result_typeE.num_vgpr, 10
	.set _ZN12_GLOBAL__N_141elementwise_kernel_with_index_grid_strideIlZZZN2at6native17linspace_cuda_outERKN3c106ScalarES6_lRNS1_6TensorEENKUlvE0_clEvENKUlvE1_clEvEUllE_EEvT_T0_PN15function_traitsISD_E11result_typeE.num_agpr, 0
	.set _ZN12_GLOBAL__N_141elementwise_kernel_with_index_grid_strideIlZZZN2at6native17linspace_cuda_outERKN3c106ScalarES6_lRNS1_6TensorEENKUlvE0_clEvENKUlvE1_clEvEUllE_EEvT_T0_PN15function_traitsISD_E11result_typeE.numbered_sgpr, 24
	.set _ZN12_GLOBAL__N_141elementwise_kernel_with_index_grid_strideIlZZZN2at6native17linspace_cuda_outERKN3c106ScalarES6_lRNS1_6TensorEENKUlvE0_clEvENKUlvE1_clEvEUllE_EEvT_T0_PN15function_traitsISD_E11result_typeE.num_named_barrier, 0
	.set _ZN12_GLOBAL__N_141elementwise_kernel_with_index_grid_strideIlZZZN2at6native17linspace_cuda_outERKN3c106ScalarES6_lRNS1_6TensorEENKUlvE0_clEvENKUlvE1_clEvEUllE_EEvT_T0_PN15function_traitsISD_E11result_typeE.private_seg_size, 0
	.set _ZN12_GLOBAL__N_141elementwise_kernel_with_index_grid_strideIlZZZN2at6native17linspace_cuda_outERKN3c106ScalarES6_lRNS1_6TensorEENKUlvE0_clEvENKUlvE1_clEvEUllE_EEvT_T0_PN15function_traitsISD_E11result_typeE.uses_vcc, 1
	.set _ZN12_GLOBAL__N_141elementwise_kernel_with_index_grid_strideIlZZZN2at6native17linspace_cuda_outERKN3c106ScalarES6_lRNS1_6TensorEENKUlvE0_clEvENKUlvE1_clEvEUllE_EEvT_T0_PN15function_traitsISD_E11result_typeE.uses_flat_scratch, 0
	.set _ZN12_GLOBAL__N_141elementwise_kernel_with_index_grid_strideIlZZZN2at6native17linspace_cuda_outERKN3c106ScalarES6_lRNS1_6TensorEENKUlvE0_clEvENKUlvE1_clEvEUllE_EEvT_T0_PN15function_traitsISD_E11result_typeE.has_dyn_sized_stack, 0
	.set _ZN12_GLOBAL__N_141elementwise_kernel_with_index_grid_strideIlZZZN2at6native17linspace_cuda_outERKN3c106ScalarES6_lRNS1_6TensorEENKUlvE0_clEvENKUlvE1_clEvEUllE_EEvT_T0_PN15function_traitsISD_E11result_typeE.has_recursion, 0
	.set _ZN12_GLOBAL__N_141elementwise_kernel_with_index_grid_strideIlZZZN2at6native17linspace_cuda_outERKN3c106ScalarES6_lRNS1_6TensorEENKUlvE0_clEvENKUlvE1_clEvEUllE_EEvT_T0_PN15function_traitsISD_E11result_typeE.has_indirect_call, 0
	.section	.AMDGPU.csdata,"",@progbits
; Kernel info:
; codeLenInByte = 452
; TotalNumSgprs: 26
; NumVgprs: 10
; ScratchSize: 0
; MemoryBound: 0
; FloatMode: 240
; IeeeMode: 1
; LDSByteSize: 0 bytes/workgroup (compile time only)
; SGPRBlocks: 0
; VGPRBlocks: 1
; NumSGPRsForWavesPerEU: 26
; NumVGPRsForWavesPerEU: 10
; Occupancy: 16
; WaveLimiterHint : 1
; COMPUTE_PGM_RSRC2:SCRATCH_EN: 0
; COMPUTE_PGM_RSRC2:USER_SGPR: 6
; COMPUTE_PGM_RSRC2:TRAP_HANDLER: 0
; COMPUTE_PGM_RSRC2:TGID_X_EN: 1
; COMPUTE_PGM_RSRC2:TGID_Y_EN: 0
; COMPUTE_PGM_RSRC2:TGID_Z_EN: 0
; COMPUTE_PGM_RSRC2:TIDIG_COMP_CNT: 0
	.section	.text._ZN12_GLOBAL__N_141elementwise_kernel_with_index_grid_strideIiZZZN2at6native17linspace_cuda_outERKN3c106ScalarES6_lRNS1_6TensorEENKUlvE0_clEvENKUlvE2_clEvEUllE_EEvT_T0_PN15function_traitsISD_E11result_typeE,"axG",@progbits,_ZN12_GLOBAL__N_141elementwise_kernel_with_index_grid_strideIiZZZN2at6native17linspace_cuda_outERKN3c106ScalarES6_lRNS1_6TensorEENKUlvE0_clEvENKUlvE2_clEvEUllE_EEvT_T0_PN15function_traitsISD_E11result_typeE,comdat
	.globl	_ZN12_GLOBAL__N_141elementwise_kernel_with_index_grid_strideIiZZZN2at6native17linspace_cuda_outERKN3c106ScalarES6_lRNS1_6TensorEENKUlvE0_clEvENKUlvE2_clEvEUllE_EEvT_T0_PN15function_traitsISD_E11result_typeE ; -- Begin function _ZN12_GLOBAL__N_141elementwise_kernel_with_index_grid_strideIiZZZN2at6native17linspace_cuda_outERKN3c106ScalarES6_lRNS1_6TensorEENKUlvE0_clEvENKUlvE2_clEvEUllE_EEvT_T0_PN15function_traitsISD_E11result_typeE
	.p2align	8
	.type	_ZN12_GLOBAL__N_141elementwise_kernel_with_index_grid_strideIiZZZN2at6native17linspace_cuda_outERKN3c106ScalarES6_lRNS1_6TensorEENKUlvE0_clEvENKUlvE2_clEvEUllE_EEvT_T0_PN15function_traitsISD_E11result_typeE,@function
_ZN12_GLOBAL__N_141elementwise_kernel_with_index_grid_strideIiZZZN2at6native17linspace_cuda_outERKN3c106ScalarES6_lRNS1_6TensorEENKUlvE0_clEvENKUlvE2_clEvEUllE_EEvT_T0_PN15function_traitsISD_E11result_typeE: ; @_ZN12_GLOBAL__N_141elementwise_kernel_with_index_grid_strideIiZZZN2at6native17linspace_cuda_outERKN3c106ScalarES6_lRNS1_6TensorEENKUlvE0_clEvENKUlvE2_clEvEUllE_EEvT_T0_PN15function_traitsISD_E11result_typeE
; %bb.0:
	s_clause 0x1
	s_load_dword s2, s[4:5], 0x44
	s_load_dword s16, s[4:5], 0x0
	s_add_u32 s0, s4, 56
	s_addc_u32 s1, s5, 0
	s_mov_b32 s3, exec_lo
	s_waitcnt lgkmcnt(0)
	s_and_b32 s2, s2, 0xffff
	v_mad_u64_u32 v[0:1], null, s6, s2, v[0:1]
	v_cmpx_gt_i32_e64 s16, v0
	s_cbranch_execz .LBB16_7
; %bb.1:
	s_load_dword s0, s[0:1], 0x0
	s_load_dwordx8 s[8:15], s[4:5], 0x18
	v_ashrrev_i32_e32 v1, 31, v0
	s_load_dwordx4 s[4:7], s[4:5], 0x8
	v_not_b32_e32 v2, v0
	s_mov_b32 s1, 0
	v_lshlrev_b64 v[4:5], 3, v[0:1]
	v_not_b32_e32 v3, v1
	s_waitcnt lgkmcnt(0)
	s_mul_i32 s2, s0, s2
	v_add_co_u32 v2, vcc_lo, v2, s8
	v_add_co_ci_u32_e64 v3, null, s9, v3, vcc_lo
	v_add_co_u32 v4, vcc_lo, s14, v4
	v_add_co_ci_u32_e64 v5, null, s15, v5, vcc_lo
	s_ashr_i32 s3, s2, 31
	v_add_co_u32 v4, vcc_lo, v4, 4
	v_add_co_ci_u32_e64 v5, null, 0, v5, vcc_lo
	s_lshl_b64 s[8:9], s[2:3], 3
	s_branch .LBB16_3
.LBB16_2:                               ;   in Loop: Header=BB16_3 Depth=1
	s_or_b32 exec_lo, exec_lo, s0
	v_add_co_u32 v0, vcc_lo, v0, s2
	v_add_co_ci_u32_e64 v1, null, s3, v1, vcc_lo
	v_sub_co_u32 v2, vcc_lo, v2, s2
	global_store_dwordx2 v[4:5], v[6:7], off offset:-4
	v_subrev_co_ci_u32_e64 v3, null, s3, v3, vcc_lo
	v_cmp_le_i32_e32 vcc_lo, s16, v0
	v_add_co_u32 v4, s0, v4, s8
	v_add_co_ci_u32_e64 v5, null, s9, v5, s0
	s_or_b32 s1, vcc_lo, s1
	s_andn2_b32 exec_lo, exec_lo, s1
	s_cbranch_execz .LBB16_7
.LBB16_3:                               ; =>This Inner Loop Header: Depth=1
	s_mov_b32 s0, exec_lo
                                        ; implicit-def: $vgpr7
	v_cmpx_le_i64_e64 s[12:13], v[0:1]
	s_xor_b32 s0, exec_lo, s0
	s_cbranch_execz .LBB16_5
; %bb.4:                                ;   in Loop: Header=BB16_3 Depth=1
	v_xor_b32_e32 v6, v2, v3
	v_ffbh_i32_e32 v7, v3
	v_ashrrev_i32_e32 v6, 31, v6
	v_add_nc_u32_e32 v7, -1, v7
	v_add_nc_u32_e32 v6, 32, v6
	v_min_u32_e32 v8, v7, v6
	v_lshlrev_b64 v[6:7], v8, v[2:3]
	v_min_u32_e32 v6, 1, v6
	v_or_b32_e32 v6, v7, v6
	v_sub_nc_u32_e32 v7, 32, v8
	v_cvt_f32_i32_e32 v6, v6
	v_ldexp_f32 v7, v6, v7
	v_fma_f32 v6, -s10, v7, s6
	v_fma_f32 v7, -s11, v7, s7
.LBB16_5:                               ;   in Loop: Header=BB16_3 Depth=1
	s_andn2_saveexec_b32 s0, s0
	s_cbranch_execz .LBB16_2
; %bb.6:                                ;   in Loop: Header=BB16_3 Depth=1
	v_cvt_f32_i32_e32 v7, v0
	v_fma_f32 v6, s10, v7, s4
	v_fma_f32 v7, s11, v7, s5
	s_branch .LBB16_2
.LBB16_7:
	s_endpgm
	.section	.rodata,"a",@progbits
	.p2align	6, 0x0
	.amdhsa_kernel _ZN12_GLOBAL__N_141elementwise_kernel_with_index_grid_strideIiZZZN2at6native17linspace_cuda_outERKN3c106ScalarES6_lRNS1_6TensorEENKUlvE0_clEvENKUlvE2_clEvEUllE_EEvT_T0_PN15function_traitsISD_E11result_typeE
		.amdhsa_group_segment_fixed_size 0
		.amdhsa_private_segment_fixed_size 0
		.amdhsa_kernarg_size 312
		.amdhsa_user_sgpr_count 6
		.amdhsa_user_sgpr_private_segment_buffer 1
		.amdhsa_user_sgpr_dispatch_ptr 0
		.amdhsa_user_sgpr_queue_ptr 0
		.amdhsa_user_sgpr_kernarg_segment_ptr 1
		.amdhsa_user_sgpr_dispatch_id 0
		.amdhsa_user_sgpr_flat_scratch_init 0
		.amdhsa_user_sgpr_private_segment_size 0
		.amdhsa_wavefront_size32 1
		.amdhsa_uses_dynamic_stack 0
		.amdhsa_system_sgpr_private_segment_wavefront_offset 0
		.amdhsa_system_sgpr_workgroup_id_x 1
		.amdhsa_system_sgpr_workgroup_id_y 0
		.amdhsa_system_sgpr_workgroup_id_z 0
		.amdhsa_system_sgpr_workgroup_info 0
		.amdhsa_system_vgpr_workitem_id 0
		.amdhsa_next_free_vgpr 9
		.amdhsa_next_free_sgpr 17
		.amdhsa_reserve_vcc 1
		.amdhsa_reserve_flat_scratch 0
		.amdhsa_float_round_mode_32 0
		.amdhsa_float_round_mode_16_64 0
		.amdhsa_float_denorm_mode_32 3
		.amdhsa_float_denorm_mode_16_64 3
		.amdhsa_dx10_clamp 1
		.amdhsa_ieee_mode 1
		.amdhsa_fp16_overflow 0
		.amdhsa_workgroup_processor_mode 1
		.amdhsa_memory_ordered 1
		.amdhsa_forward_progress 1
		.amdhsa_shared_vgpr_count 0
		.amdhsa_exception_fp_ieee_invalid_op 0
		.amdhsa_exception_fp_denorm_src 0
		.amdhsa_exception_fp_ieee_div_zero 0
		.amdhsa_exception_fp_ieee_overflow 0
		.amdhsa_exception_fp_ieee_underflow 0
		.amdhsa_exception_fp_ieee_inexact 0
		.amdhsa_exception_int_div_zero 0
	.end_amdhsa_kernel
	.section	.text._ZN12_GLOBAL__N_141elementwise_kernel_with_index_grid_strideIiZZZN2at6native17linspace_cuda_outERKN3c106ScalarES6_lRNS1_6TensorEENKUlvE0_clEvENKUlvE2_clEvEUllE_EEvT_T0_PN15function_traitsISD_E11result_typeE,"axG",@progbits,_ZN12_GLOBAL__N_141elementwise_kernel_with_index_grid_strideIiZZZN2at6native17linspace_cuda_outERKN3c106ScalarES6_lRNS1_6TensorEENKUlvE0_clEvENKUlvE2_clEvEUllE_EEvT_T0_PN15function_traitsISD_E11result_typeE,comdat
.Lfunc_end16:
	.size	_ZN12_GLOBAL__N_141elementwise_kernel_with_index_grid_strideIiZZZN2at6native17linspace_cuda_outERKN3c106ScalarES6_lRNS1_6TensorEENKUlvE0_clEvENKUlvE2_clEvEUllE_EEvT_T0_PN15function_traitsISD_E11result_typeE, .Lfunc_end16-_ZN12_GLOBAL__N_141elementwise_kernel_with_index_grid_strideIiZZZN2at6native17linspace_cuda_outERKN3c106ScalarES6_lRNS1_6TensorEENKUlvE0_clEvENKUlvE2_clEvEUllE_EEvT_T0_PN15function_traitsISD_E11result_typeE
                                        ; -- End function
	.set _ZN12_GLOBAL__N_141elementwise_kernel_with_index_grid_strideIiZZZN2at6native17linspace_cuda_outERKN3c106ScalarES6_lRNS1_6TensorEENKUlvE0_clEvENKUlvE2_clEvEUllE_EEvT_T0_PN15function_traitsISD_E11result_typeE.num_vgpr, 9
	.set _ZN12_GLOBAL__N_141elementwise_kernel_with_index_grid_strideIiZZZN2at6native17linspace_cuda_outERKN3c106ScalarES6_lRNS1_6TensorEENKUlvE0_clEvENKUlvE2_clEvEUllE_EEvT_T0_PN15function_traitsISD_E11result_typeE.num_agpr, 0
	.set _ZN12_GLOBAL__N_141elementwise_kernel_with_index_grid_strideIiZZZN2at6native17linspace_cuda_outERKN3c106ScalarES6_lRNS1_6TensorEENKUlvE0_clEvENKUlvE2_clEvEUllE_EEvT_T0_PN15function_traitsISD_E11result_typeE.numbered_sgpr, 17
	.set _ZN12_GLOBAL__N_141elementwise_kernel_with_index_grid_strideIiZZZN2at6native17linspace_cuda_outERKN3c106ScalarES6_lRNS1_6TensorEENKUlvE0_clEvENKUlvE2_clEvEUllE_EEvT_T0_PN15function_traitsISD_E11result_typeE.num_named_barrier, 0
	.set _ZN12_GLOBAL__N_141elementwise_kernel_with_index_grid_strideIiZZZN2at6native17linspace_cuda_outERKN3c106ScalarES6_lRNS1_6TensorEENKUlvE0_clEvENKUlvE2_clEvEUllE_EEvT_T0_PN15function_traitsISD_E11result_typeE.private_seg_size, 0
	.set _ZN12_GLOBAL__N_141elementwise_kernel_with_index_grid_strideIiZZZN2at6native17linspace_cuda_outERKN3c106ScalarES6_lRNS1_6TensorEENKUlvE0_clEvENKUlvE2_clEvEUllE_EEvT_T0_PN15function_traitsISD_E11result_typeE.uses_vcc, 1
	.set _ZN12_GLOBAL__N_141elementwise_kernel_with_index_grid_strideIiZZZN2at6native17linspace_cuda_outERKN3c106ScalarES6_lRNS1_6TensorEENKUlvE0_clEvENKUlvE2_clEvEUllE_EEvT_T0_PN15function_traitsISD_E11result_typeE.uses_flat_scratch, 0
	.set _ZN12_GLOBAL__N_141elementwise_kernel_with_index_grid_strideIiZZZN2at6native17linspace_cuda_outERKN3c106ScalarES6_lRNS1_6TensorEENKUlvE0_clEvENKUlvE2_clEvEUllE_EEvT_T0_PN15function_traitsISD_E11result_typeE.has_dyn_sized_stack, 0
	.set _ZN12_GLOBAL__N_141elementwise_kernel_with_index_grid_strideIiZZZN2at6native17linspace_cuda_outERKN3c106ScalarES6_lRNS1_6TensorEENKUlvE0_clEvENKUlvE2_clEvEUllE_EEvT_T0_PN15function_traitsISD_E11result_typeE.has_recursion, 0
	.set _ZN12_GLOBAL__N_141elementwise_kernel_with_index_grid_strideIiZZZN2at6native17linspace_cuda_outERKN3c106ScalarES6_lRNS1_6TensorEENKUlvE0_clEvENKUlvE2_clEvEUllE_EEvT_T0_PN15function_traitsISD_E11result_typeE.has_indirect_call, 0
	.section	.AMDGPU.csdata,"",@progbits
; Kernel info:
; codeLenInByte = 384
; TotalNumSgprs: 19
; NumVgprs: 9
; ScratchSize: 0
; MemoryBound: 0
; FloatMode: 240
; IeeeMode: 1
; LDSByteSize: 0 bytes/workgroup (compile time only)
; SGPRBlocks: 0
; VGPRBlocks: 1
; NumSGPRsForWavesPerEU: 19
; NumVGPRsForWavesPerEU: 9
; Occupancy: 16
; WaveLimiterHint : 0
; COMPUTE_PGM_RSRC2:SCRATCH_EN: 0
; COMPUTE_PGM_RSRC2:USER_SGPR: 6
; COMPUTE_PGM_RSRC2:TRAP_HANDLER: 0
; COMPUTE_PGM_RSRC2:TGID_X_EN: 1
; COMPUTE_PGM_RSRC2:TGID_Y_EN: 0
; COMPUTE_PGM_RSRC2:TGID_Z_EN: 0
; COMPUTE_PGM_RSRC2:TIDIG_COMP_CNT: 0
	.section	.text._ZN12_GLOBAL__N_141elementwise_kernel_with_index_grid_strideIlZZZN2at6native17linspace_cuda_outERKN3c106ScalarES6_lRNS1_6TensorEENKUlvE0_clEvENKUlvE2_clEvEUllE_EEvT_T0_PN15function_traitsISD_E11result_typeE,"axG",@progbits,_ZN12_GLOBAL__N_141elementwise_kernel_with_index_grid_strideIlZZZN2at6native17linspace_cuda_outERKN3c106ScalarES6_lRNS1_6TensorEENKUlvE0_clEvENKUlvE2_clEvEUllE_EEvT_T0_PN15function_traitsISD_E11result_typeE,comdat
	.globl	_ZN12_GLOBAL__N_141elementwise_kernel_with_index_grid_strideIlZZZN2at6native17linspace_cuda_outERKN3c106ScalarES6_lRNS1_6TensorEENKUlvE0_clEvENKUlvE2_clEvEUllE_EEvT_T0_PN15function_traitsISD_E11result_typeE ; -- Begin function _ZN12_GLOBAL__N_141elementwise_kernel_with_index_grid_strideIlZZZN2at6native17linspace_cuda_outERKN3c106ScalarES6_lRNS1_6TensorEENKUlvE0_clEvENKUlvE2_clEvEUllE_EEvT_T0_PN15function_traitsISD_E11result_typeE
	.p2align	8
	.type	_ZN12_GLOBAL__N_141elementwise_kernel_with_index_grid_strideIlZZZN2at6native17linspace_cuda_outERKN3c106ScalarES6_lRNS1_6TensorEENKUlvE0_clEvENKUlvE2_clEvEUllE_EEvT_T0_PN15function_traitsISD_E11result_typeE,@function
_ZN12_GLOBAL__N_141elementwise_kernel_with_index_grid_strideIlZZZN2at6native17linspace_cuda_outERKN3c106ScalarES6_lRNS1_6TensorEENKUlvE0_clEvENKUlvE2_clEvEUllE_EEvT_T0_PN15function_traitsISD_E11result_typeE: ; @_ZN12_GLOBAL__N_141elementwise_kernel_with_index_grid_strideIlZZZN2at6native17linspace_cuda_outERKN3c106ScalarES6_lRNS1_6TensorEENKUlvE0_clEvENKUlvE2_clEvEUllE_EEvT_T0_PN15function_traitsISD_E11result_typeE
; %bb.0:
	s_clause 0x1
	s_load_dword s7, s[4:5], 0x44
	s_load_dwordx2 s[2:3], s[4:5], 0x0
	v_mov_b32_e32 v1, 0
	s_add_u32 s0, s4, 56
	s_addc_u32 s1, s5, 0
	s_waitcnt lgkmcnt(0)
	s_and_b32 s16, s7, 0xffff
	v_mad_u64_u32 v[0:1], null, s16, s6, v[0:1]
	s_mov_b32 s6, exec_lo
	v_cmpx_gt_i64_e64 s[2:3], v[0:1]
	s_cbranch_execz .LBB17_7
; %bb.1:
	s_load_dword s0, s[0:1], 0x0
	s_clause 0x1
	s_load_dwordx8 s[8:15], s[4:5], 0x18
	s_load_dwordx4 s[4:7], s[4:5], 0x8
	v_lshlrev_b64 v[2:3], 3, v[0:1]
	v_not_b32_e32 v5, v0
	v_not_b32_e32 v4, v1
	s_mov_b32 s1, 0
	s_waitcnt lgkmcnt(0)
	s_mul_hi_u32 s17, s16, s0
	v_add_co_u32 v6, vcc_lo, s14, v2
	v_add_co_ci_u32_e64 v7, null, s15, v3, vcc_lo
	v_add_co_u32 v2, vcc_lo, v5, s8
	v_add_co_ci_u32_e64 v3, null, s9, v4, vcc_lo
	;; [unrolled: 2-line block ×3, first 2 shown]
	s_mul_i32 s16, s16, s0
	s_lshl_b64 s[8:9], s[16:17], 3
	s_branch .LBB17_3
.LBB17_2:                               ;   in Loop: Header=BB17_3 Depth=1
	s_or_b32 exec_lo, exec_lo, s0
	v_add_co_u32 v0, vcc_lo, v0, s16
	v_add_co_ci_u32_e64 v1, null, s17, v1, vcc_lo
	v_sub_co_u32 v2, vcc_lo, v2, s16
	v_subrev_co_ci_u32_e64 v3, null, s17, v3, vcc_lo
	v_cmp_le_i64_e32 vcc_lo, s[2:3], v[0:1]
	global_store_dwordx2 v[4:5], v[6:7], off offset:-4
	v_add_co_u32 v4, s0, v4, s8
	v_add_co_ci_u32_e64 v5, null, s9, v5, s0
	s_or_b32 s1, vcc_lo, s1
	s_andn2_b32 exec_lo, exec_lo, s1
	s_cbranch_execz .LBB17_7
.LBB17_3:                               ; =>This Inner Loop Header: Depth=1
	s_mov_b32 s0, exec_lo
                                        ; implicit-def: $vgpr7
	v_cmpx_le_i64_e64 s[12:13], v[0:1]
	s_xor_b32 s0, exec_lo, s0
	s_cbranch_execz .LBB17_5
; %bb.4:                                ;   in Loop: Header=BB17_3 Depth=1
	v_xor_b32_e32 v6, v2, v3
	v_ffbh_i32_e32 v7, v3
	v_ashrrev_i32_e32 v6, 31, v6
	v_add_nc_u32_e32 v7, -1, v7
	v_add_nc_u32_e32 v6, 32, v6
	v_min_u32_e32 v8, v7, v6
	v_lshlrev_b64 v[6:7], v8, v[2:3]
	v_min_u32_e32 v6, 1, v6
	v_or_b32_e32 v6, v7, v6
	v_sub_nc_u32_e32 v7, 32, v8
	v_cvt_f32_i32_e32 v6, v6
	v_ldexp_f32 v7, v6, v7
	v_fma_f32 v6, -s10, v7, s6
	v_fma_f32 v7, -s11, v7, s7
.LBB17_5:                               ;   in Loop: Header=BB17_3 Depth=1
	s_andn2_saveexec_b32 s0, s0
	s_cbranch_execz .LBB17_2
; %bb.6:                                ;   in Loop: Header=BB17_3 Depth=1
	v_ffbh_u32_e32 v6, v1
	v_min_u32_e32 v8, 32, v6
	v_lshlrev_b64 v[6:7], v8, v[0:1]
	v_min_u32_e32 v6, 1, v6
	v_or_b32_e32 v6, v7, v6
	v_sub_nc_u32_e32 v7, 32, v8
	v_cvt_f32_u32_e32 v6, v6
	v_ldexp_f32 v7, v6, v7
	v_fma_f32 v6, s10, v7, s4
	v_fma_f32 v7, s11, v7, s5
	s_branch .LBB17_2
.LBB17_7:
	s_endpgm
	.section	.rodata,"a",@progbits
	.p2align	6, 0x0
	.amdhsa_kernel _ZN12_GLOBAL__N_141elementwise_kernel_with_index_grid_strideIlZZZN2at6native17linspace_cuda_outERKN3c106ScalarES6_lRNS1_6TensorEENKUlvE0_clEvENKUlvE2_clEvEUllE_EEvT_T0_PN15function_traitsISD_E11result_typeE
		.amdhsa_group_segment_fixed_size 0
		.amdhsa_private_segment_fixed_size 0
		.amdhsa_kernarg_size 312
		.amdhsa_user_sgpr_count 6
		.amdhsa_user_sgpr_private_segment_buffer 1
		.amdhsa_user_sgpr_dispatch_ptr 0
		.amdhsa_user_sgpr_queue_ptr 0
		.amdhsa_user_sgpr_kernarg_segment_ptr 1
		.amdhsa_user_sgpr_dispatch_id 0
		.amdhsa_user_sgpr_flat_scratch_init 0
		.amdhsa_user_sgpr_private_segment_size 0
		.amdhsa_wavefront_size32 1
		.amdhsa_uses_dynamic_stack 0
		.amdhsa_system_sgpr_private_segment_wavefront_offset 0
		.amdhsa_system_sgpr_workgroup_id_x 1
		.amdhsa_system_sgpr_workgroup_id_y 0
		.amdhsa_system_sgpr_workgroup_id_z 0
		.amdhsa_system_sgpr_workgroup_info 0
		.amdhsa_system_vgpr_workitem_id 0
		.amdhsa_next_free_vgpr 9
		.amdhsa_next_free_sgpr 18
		.amdhsa_reserve_vcc 1
		.amdhsa_reserve_flat_scratch 0
		.amdhsa_float_round_mode_32 0
		.amdhsa_float_round_mode_16_64 0
		.amdhsa_float_denorm_mode_32 3
		.amdhsa_float_denorm_mode_16_64 3
		.amdhsa_dx10_clamp 1
		.amdhsa_ieee_mode 1
		.amdhsa_fp16_overflow 0
		.amdhsa_workgroup_processor_mode 1
		.amdhsa_memory_ordered 1
		.amdhsa_forward_progress 1
		.amdhsa_shared_vgpr_count 0
		.amdhsa_exception_fp_ieee_invalid_op 0
		.amdhsa_exception_fp_denorm_src 0
		.amdhsa_exception_fp_ieee_div_zero 0
		.amdhsa_exception_fp_ieee_overflow 0
		.amdhsa_exception_fp_ieee_underflow 0
		.amdhsa_exception_fp_ieee_inexact 0
		.amdhsa_exception_int_div_zero 0
	.end_amdhsa_kernel
	.section	.text._ZN12_GLOBAL__N_141elementwise_kernel_with_index_grid_strideIlZZZN2at6native17linspace_cuda_outERKN3c106ScalarES6_lRNS1_6TensorEENKUlvE0_clEvENKUlvE2_clEvEUllE_EEvT_T0_PN15function_traitsISD_E11result_typeE,"axG",@progbits,_ZN12_GLOBAL__N_141elementwise_kernel_with_index_grid_strideIlZZZN2at6native17linspace_cuda_outERKN3c106ScalarES6_lRNS1_6TensorEENKUlvE0_clEvENKUlvE2_clEvEUllE_EEvT_T0_PN15function_traitsISD_E11result_typeE,comdat
.Lfunc_end17:
	.size	_ZN12_GLOBAL__N_141elementwise_kernel_with_index_grid_strideIlZZZN2at6native17linspace_cuda_outERKN3c106ScalarES6_lRNS1_6TensorEENKUlvE0_clEvENKUlvE2_clEvEUllE_EEvT_T0_PN15function_traitsISD_E11result_typeE, .Lfunc_end17-_ZN12_GLOBAL__N_141elementwise_kernel_with_index_grid_strideIlZZZN2at6native17linspace_cuda_outERKN3c106ScalarES6_lRNS1_6TensorEENKUlvE0_clEvENKUlvE2_clEvEUllE_EEvT_T0_PN15function_traitsISD_E11result_typeE
                                        ; -- End function
	.set _ZN12_GLOBAL__N_141elementwise_kernel_with_index_grid_strideIlZZZN2at6native17linspace_cuda_outERKN3c106ScalarES6_lRNS1_6TensorEENKUlvE0_clEvENKUlvE2_clEvEUllE_EEvT_T0_PN15function_traitsISD_E11result_typeE.num_vgpr, 9
	.set _ZN12_GLOBAL__N_141elementwise_kernel_with_index_grid_strideIlZZZN2at6native17linspace_cuda_outERKN3c106ScalarES6_lRNS1_6TensorEENKUlvE0_clEvENKUlvE2_clEvEUllE_EEvT_T0_PN15function_traitsISD_E11result_typeE.num_agpr, 0
	.set _ZN12_GLOBAL__N_141elementwise_kernel_with_index_grid_strideIlZZZN2at6native17linspace_cuda_outERKN3c106ScalarES6_lRNS1_6TensorEENKUlvE0_clEvENKUlvE2_clEvEUllE_EEvT_T0_PN15function_traitsISD_E11result_typeE.numbered_sgpr, 18
	.set _ZN12_GLOBAL__N_141elementwise_kernel_with_index_grid_strideIlZZZN2at6native17linspace_cuda_outERKN3c106ScalarES6_lRNS1_6TensorEENKUlvE0_clEvENKUlvE2_clEvEUllE_EEvT_T0_PN15function_traitsISD_E11result_typeE.num_named_barrier, 0
	.set _ZN12_GLOBAL__N_141elementwise_kernel_with_index_grid_strideIlZZZN2at6native17linspace_cuda_outERKN3c106ScalarES6_lRNS1_6TensorEENKUlvE0_clEvENKUlvE2_clEvEUllE_EEvT_T0_PN15function_traitsISD_E11result_typeE.private_seg_size, 0
	.set _ZN12_GLOBAL__N_141elementwise_kernel_with_index_grid_strideIlZZZN2at6native17linspace_cuda_outERKN3c106ScalarES6_lRNS1_6TensorEENKUlvE0_clEvENKUlvE2_clEvEUllE_EEvT_T0_PN15function_traitsISD_E11result_typeE.uses_vcc, 1
	.set _ZN12_GLOBAL__N_141elementwise_kernel_with_index_grid_strideIlZZZN2at6native17linspace_cuda_outERKN3c106ScalarES6_lRNS1_6TensorEENKUlvE0_clEvENKUlvE2_clEvEUllE_EEvT_T0_PN15function_traitsISD_E11result_typeE.uses_flat_scratch, 0
	.set _ZN12_GLOBAL__N_141elementwise_kernel_with_index_grid_strideIlZZZN2at6native17linspace_cuda_outERKN3c106ScalarES6_lRNS1_6TensorEENKUlvE0_clEvENKUlvE2_clEvEUllE_EEvT_T0_PN15function_traitsISD_E11result_typeE.has_dyn_sized_stack, 0
	.set _ZN12_GLOBAL__N_141elementwise_kernel_with_index_grid_strideIlZZZN2at6native17linspace_cuda_outERKN3c106ScalarES6_lRNS1_6TensorEENKUlvE0_clEvENKUlvE2_clEvEUllE_EEvT_T0_PN15function_traitsISD_E11result_typeE.has_recursion, 0
	.set _ZN12_GLOBAL__N_141elementwise_kernel_with_index_grid_strideIlZZZN2at6native17linspace_cuda_outERKN3c106ScalarES6_lRNS1_6TensorEENKUlvE0_clEvENKUlvE2_clEvEUllE_EEvT_T0_PN15function_traitsISD_E11result_typeE.has_indirect_call, 0
	.section	.AMDGPU.csdata,"",@progbits
; Kernel info:
; codeLenInByte = 424
; TotalNumSgprs: 20
; NumVgprs: 9
; ScratchSize: 0
; MemoryBound: 0
; FloatMode: 240
; IeeeMode: 1
; LDSByteSize: 0 bytes/workgroup (compile time only)
; SGPRBlocks: 0
; VGPRBlocks: 1
; NumSGPRsForWavesPerEU: 20
; NumVGPRsForWavesPerEU: 9
; Occupancy: 16
; WaveLimiterHint : 0
; COMPUTE_PGM_RSRC2:SCRATCH_EN: 0
; COMPUTE_PGM_RSRC2:USER_SGPR: 6
; COMPUTE_PGM_RSRC2:TRAP_HANDLER: 0
; COMPUTE_PGM_RSRC2:TGID_X_EN: 1
; COMPUTE_PGM_RSRC2:TGID_Y_EN: 0
; COMPUTE_PGM_RSRC2:TGID_Z_EN: 0
; COMPUTE_PGM_RSRC2:TIDIG_COMP_CNT: 0
	.section	.text._ZN12_GLOBAL__N_141elementwise_kernel_with_index_grid_strideIiZZZN2at6native17linspace_cuda_outERKN3c106ScalarES6_lRNS1_6TensorEENKUlvE0_clEvENKUlvE3_clEvEUllE_EEvT_T0_PN15function_traitsISD_E11result_typeE,"axG",@progbits,_ZN12_GLOBAL__N_141elementwise_kernel_with_index_grid_strideIiZZZN2at6native17linspace_cuda_outERKN3c106ScalarES6_lRNS1_6TensorEENKUlvE0_clEvENKUlvE3_clEvEUllE_EEvT_T0_PN15function_traitsISD_E11result_typeE,comdat
	.globl	_ZN12_GLOBAL__N_141elementwise_kernel_with_index_grid_strideIiZZZN2at6native17linspace_cuda_outERKN3c106ScalarES6_lRNS1_6TensorEENKUlvE0_clEvENKUlvE3_clEvEUllE_EEvT_T0_PN15function_traitsISD_E11result_typeE ; -- Begin function _ZN12_GLOBAL__N_141elementwise_kernel_with_index_grid_strideIiZZZN2at6native17linspace_cuda_outERKN3c106ScalarES6_lRNS1_6TensorEENKUlvE0_clEvENKUlvE3_clEvEUllE_EEvT_T0_PN15function_traitsISD_E11result_typeE
	.p2align	8
	.type	_ZN12_GLOBAL__N_141elementwise_kernel_with_index_grid_strideIiZZZN2at6native17linspace_cuda_outERKN3c106ScalarES6_lRNS1_6TensorEENKUlvE0_clEvENKUlvE3_clEvEUllE_EEvT_T0_PN15function_traitsISD_E11result_typeE,@function
_ZN12_GLOBAL__N_141elementwise_kernel_with_index_grid_strideIiZZZN2at6native17linspace_cuda_outERKN3c106ScalarES6_lRNS1_6TensorEENKUlvE0_clEvENKUlvE3_clEvEUllE_EEvT_T0_PN15function_traitsISD_E11result_typeE: ; @_ZN12_GLOBAL__N_141elementwise_kernel_with_index_grid_strideIiZZZN2at6native17linspace_cuda_outERKN3c106ScalarES6_lRNS1_6TensorEENKUlvE0_clEvENKUlvE3_clEvEUllE_EEvT_T0_PN15function_traitsISD_E11result_typeE
; %bb.0:
	s_clause 0x1
	s_load_dword s2, s[4:5], 0x3c
	s_load_dword s14, s[4:5], 0x0
	s_add_u32 s0, s4, 48
	s_addc_u32 s1, s5, 0
	s_waitcnt lgkmcnt(0)
	s_and_b32 s3, s2, 0xffff
	s_mov_b32 s2, exec_lo
	v_mad_u64_u32 v[1:2], null, s6, s3, v[0:1]
	v_cmpx_gt_i32_e64 s14, v1
	s_cbranch_execz .LBB18_12
; %bb.1:
	s_load_dword s0, s[0:1], 0x0
	s_mov_b32 s17, 0
	s_waitcnt lgkmcnt(0)
	s_mul_i32 s2, s0, s3
	s_add_i32 s0, s6, s0
	v_cvt_f32_u32_e32 v2, s2
	s_sub_i32 s1, 0, s2
	s_mul_i32 s0, s0, s3
	s_mov_b32 s3, exec_lo
	v_add_nc_u32_e32 v4, s0, v0
	v_rcp_iflag_f32_e32 v2, v2
	v_cmp_gt_i32_e32 vcc_lo, s14, v4
	v_max_i32_e32 v5, s14, v4
	v_add_co_ci_u32_e64 v0, null, s0, v0, vcc_lo
	v_mul_f32_e32 v2, 0x4f7ffffe, v2
	v_sub_nc_u32_e32 v0, v5, v0
	v_cvt_u32_f32_e32 v2, v2
	v_mul_lo_u32 v3, s1, v2
	s_clause 0x3
	s_load_dword s1, s[4:5], 0x8
	s_load_dwordx2 s[8:9], s[4:5], 0x10
	s_load_dword s15, s[4:5], 0x18
	s_load_dwordx4 s[4:7], s[4:5], 0x20
	v_mul_hi_u32 v3, v2, v3
	v_add_nc_u32_e32 v2, v2, v3
	s_waitcnt lgkmcnt(0)
	s_lshr_b32 s16, s1, 16
	v_mul_hi_u32 v2, v0, v2
	v_mul_lo_u32 v3, v2, s2
	v_sub_nc_u32_e32 v0, v0, v3
	v_add_nc_u32_e32 v3, 1, v2
	v_cmp_le_u32_e64 s0, s2, v0
	v_cndmask_b32_e64 v2, v2, v3, s0
	v_subrev_nc_u32_e32 v3, s2, v0
	v_cndmask_b32_e64 v0, v0, v3, s0
	v_add_nc_u32_e32 v3, 1, v2
	v_cmp_le_u32_e64 s0, s2, v0
	v_cndmask_b32_e64 v0, v2, v3, s0
	s_mov_b32 s0, -1
	v_add_co_ci_u32_e64 v0, null, 1, v0, vcc_lo
	v_cmpx_lt_u32_e32 1, v0
	s_cbranch_execz .LBB18_5
; %bb.2:
	v_add_nc_u32_e32 v2, s2, v1
	v_and_b32_e32 v4, -2, v0
	s_lshl_b32 s22, s2, 1
	s_mov_b32 s10, s4
	s_mov_b32 s11, s5
	v_mov_b32_e32 v3, v2
	v_mov_b32_e32 v5, v4
	;; [unrolled: 1-line block ×3, first 2 shown]
	s_mov_b32 s12, s4
	s_mov_b32 s13, s5
	;; [unrolled: 1-line block ×4, first 2 shown]
	s_pack_ll_b32_b16 s20, s15, s15
	s_pack_ll_b32_b16 s21, s16, s16
	s_pack_ll_b32_b16 s23, s1, s1
	s_mov_b32 s24, s22
.LBB18_3:                               ; =>This Inner Loop Header: Depth=1
	v_xor_b32_e32 v6, -1, v2
	v_xor_b32_e32 v7, -1, v3
	v_cvt_f32_i32_e32 v16, v2
	v_cvt_f32_i32_e32 v17, v3
	v_add_nc_u32_e32 v5, -2, v5
	v_ashrrev_i32_e32 v10, 31, v6
	v_ashrrev_i32_e32 v9, 31, v7
	v_add_co_u32 v6, vcc_lo, s8, v6
	v_add_co_u32 v8, s0, s18, v7
	v_add_co_ci_u32_e64 v9, null, s19, v9, s0
	v_add_co_ci_u32_e64 v7, null, s9, v10, vcc_lo
	v_cvt_f16_f32_e32 v17, v17
	v_xor_b32_e32 v10, v8, v9
	v_ffbh_i32_e32 v13, v9
	v_xor_b32_e32 v11, v6, v7
	v_ffbh_i32_e32 v12, v7
	v_cvt_f16_f32_e32 v16, v16
	v_ashrrev_i32_e32 v10, 31, v10
	v_add_nc_u32_e32 v13, -1, v13
	v_ashrrev_i32_e32 v11, 31, v11
	v_add_nc_u32_e32 v12, -1, v12
	v_pack_b32_f16 v16, v16, v17
	v_add_nc_u32_e32 v14, 32, v10
	v_mov_b32_e32 v10, v3
	v_add_nc_u32_e32 v15, 32, v11
	v_ashrrev_i32_e32 v11, 31, v3
	v_cmp_eq_u32_e32 vcc_lo, 0, v5
	v_min_u32_e32 v14, v13, v14
	v_ashrrev_i32_e32 v13, 31, v2
	v_min_u32_e32 v15, v12, v15
	v_mov_b32_e32 v12, v2
	v_add_nc_u32_e32 v3, s24, v3
	v_lshlrev_b64 v[8:9], v14, v[8:9]
	v_sub_nc_u32_e32 v14, 32, v14
	v_lshlrev_b64 v[6:7], v15, v[6:7]
	v_add_nc_u32_e32 v2, s22, v2
	s_or_b32 s17, vcc_lo, s17
	v_min_u32_e32 v8, 1, v8
	v_min_u32_e32 v6, 1, v6
	v_or_b32_e32 v8, v9, v8
	v_sub_nc_u32_e32 v9, 32, v15
	v_or_b32_e32 v6, v7, v6
	v_cvt_f32_i32_e32 v8, v8
	v_cvt_f32_i32_e32 v15, v6
	v_lshlrev_b64 v[6:7], 1, v[12:13]
	v_ldexp_f32 v14, v8, v14
	v_ldexp_f32 v15, v15, v9
	v_lshlrev_b64 v[8:9], 1, v[10:11]
	v_add_co_u32 v6, s0, s6, v6
	v_cvt_f16_f32_e32 v14, v14
	v_cvt_f16_f32_e32 v15, v15
	v_add_co_ci_u32_e64 v7, null, s7, v7, s0
	v_add_co_u32 v8, s0, s6, v8
	v_pack_b32_f16 v14, v15, v14
	v_add_co_ci_u32_e64 v9, null, s7, v9, s0
	v_cmp_gt_i64_e64 s0, s[10:11], v[12:13]
	v_pk_fma_f16 v15, s20, v16, s23
	v_pk_fma_f16 v14, s20, v14, s21 neg_lo:[1,0,0] neg_hi:[1,0,0]
	v_lshrrev_b32_e32 v16, 16, v15
	v_cndmask_b32_e64 v12, v14, v15, s0
	v_cmp_gt_i64_e64 s0, s[12:13], v[10:11]
	v_lshrrev_b32_e32 v17, 16, v14
	v_cndmask_b32_e64 v10, v17, v16, s0
	global_store_short v[6:7], v12, off
	global_store_short v[8:9], v10, off
	s_andn2_b32 exec_lo, exec_lo, s17
	s_cbranch_execnz .LBB18_3
; %bb.4:
	s_or_b32 exec_lo, exec_lo, s17
	v_mad_u64_u32 v[1:2], null, v4, s2, v[1:2]
	v_cmp_ne_u32_e32 vcc_lo, v0, v4
	s_orn2_b32 s0, vcc_lo, exec_lo
.LBB18_5:
	s_or_b32 exec_lo, exec_lo, s3
	s_and_b32 exec_lo, exec_lo, s0
	s_cbranch_execz .LBB18_12
; %bb.6:
	v_ashrrev_i32_e32 v2, 31, v1
	v_not_b32_e32 v0, v1
	s_ashr_i32 s3, s2, 31
	v_lshlrev_b64 v[5:6], 1, v[1:2]
	v_not_b32_e32 v4, v2
	v_add_co_u32 v3, vcc_lo, v0, s8
	s_mov_b32 s8, 0
	v_add_co_ci_u32_e64 v4, null, s9, v4, vcc_lo
	v_add_co_u32 v5, vcc_lo, s6, v5
	v_add_co_ci_u32_e64 v6, null, s7, v6, vcc_lo
	s_lshl_b64 s[6:7], s[2:3], 1
	s_inst_prefetch 0x1
	s_branch .LBB18_8
	.p2align	6
.LBB18_7:                               ;   in Loop: Header=BB18_8 Depth=1
	s_or_b32 exec_lo, exec_lo, s0
	v_add_co_u32 v1, vcc_lo, v1, s2
	v_add_co_ci_u32_e64 v2, null, s3, v2, vcc_lo
	v_sub_co_u32 v3, vcc_lo, v3, s2
	global_store_short v[5:6], v0, off
	v_subrev_co_ci_u32_e64 v4, null, s3, v4, vcc_lo
	v_cmp_le_i32_e32 vcc_lo, s14, v1
	v_add_co_u32 v5, s0, v5, s6
	v_add_co_ci_u32_e64 v6, null, s7, v6, s0
	s_or_b32 s8, vcc_lo, s8
	s_andn2_b32 exec_lo, exec_lo, s8
	s_cbranch_execz .LBB18_12
.LBB18_8:                               ; =>This Inner Loop Header: Depth=1
	s_mov_b32 s0, exec_lo
                                        ; implicit-def: $vgpr0
	v_cmpx_le_i64_e64 s[4:5], v[1:2]
	s_xor_b32 s0, exec_lo, s0
	s_cbranch_execz .LBB18_10
; %bb.9:                                ;   in Loop: Header=BB18_8 Depth=1
	v_xor_b32_e32 v0, v3, v4
	v_ffbh_i32_e32 v7, v4
	v_ashrrev_i32_e32 v0, 31, v0
	v_add_nc_u32_e32 v7, -1, v7
	v_add_nc_u32_e32 v0, 32, v0
	v_min_u32_e32 v0, v7, v0
	v_lshlrev_b64 v[7:8], v0, v[3:4]
	v_sub_nc_u32_e32 v0, 32, v0
	v_min_u32_e32 v7, 1, v7
	v_or_b32_e32 v7, v8, v7
	v_cvt_f32_i32_e32 v7, v7
	v_ldexp_f32 v0, v7, v0
	v_cvt_f16_f32_e32 v0, v0
	v_fma_f16 v0, -s15, v0, s16
.LBB18_10:                              ;   in Loop: Header=BB18_8 Depth=1
	s_andn2_saveexec_b32 s0, s0
	s_cbranch_execz .LBB18_7
; %bb.11:                               ;   in Loop: Header=BB18_8 Depth=1
	v_cvt_f32_i32_e32 v0, v1
	v_cvt_f16_f32_e32 v0, v0
	v_fma_f16 v0, s15, v0, s1
	s_branch .LBB18_7
.LBB18_12:
	s_inst_prefetch 0x2
	s_endpgm
	.section	.rodata,"a",@progbits
	.p2align	6, 0x0
	.amdhsa_kernel _ZN12_GLOBAL__N_141elementwise_kernel_with_index_grid_strideIiZZZN2at6native17linspace_cuda_outERKN3c106ScalarES6_lRNS1_6TensorEENKUlvE0_clEvENKUlvE3_clEvEUllE_EEvT_T0_PN15function_traitsISD_E11result_typeE
		.amdhsa_group_segment_fixed_size 0
		.amdhsa_private_segment_fixed_size 0
		.amdhsa_kernarg_size 304
		.amdhsa_user_sgpr_count 6
		.amdhsa_user_sgpr_private_segment_buffer 1
		.amdhsa_user_sgpr_dispatch_ptr 0
		.amdhsa_user_sgpr_queue_ptr 0
		.amdhsa_user_sgpr_kernarg_segment_ptr 1
		.amdhsa_user_sgpr_dispatch_id 0
		.amdhsa_user_sgpr_flat_scratch_init 0
		.amdhsa_user_sgpr_private_segment_size 0
		.amdhsa_wavefront_size32 1
		.amdhsa_uses_dynamic_stack 0
		.amdhsa_system_sgpr_private_segment_wavefront_offset 0
		.amdhsa_system_sgpr_workgroup_id_x 1
		.amdhsa_system_sgpr_workgroup_id_y 0
		.amdhsa_system_sgpr_workgroup_id_z 0
		.amdhsa_system_sgpr_workgroup_info 0
		.amdhsa_system_vgpr_workitem_id 0
		.amdhsa_next_free_vgpr 18
		.amdhsa_next_free_sgpr 25
		.amdhsa_reserve_vcc 1
		.amdhsa_reserve_flat_scratch 0
		.amdhsa_float_round_mode_32 0
		.amdhsa_float_round_mode_16_64 0
		.amdhsa_float_denorm_mode_32 3
		.amdhsa_float_denorm_mode_16_64 3
		.amdhsa_dx10_clamp 1
		.amdhsa_ieee_mode 1
		.amdhsa_fp16_overflow 0
		.amdhsa_workgroup_processor_mode 1
		.amdhsa_memory_ordered 1
		.amdhsa_forward_progress 1
		.amdhsa_shared_vgpr_count 0
		.amdhsa_exception_fp_ieee_invalid_op 0
		.amdhsa_exception_fp_denorm_src 0
		.amdhsa_exception_fp_ieee_div_zero 0
		.amdhsa_exception_fp_ieee_overflow 0
		.amdhsa_exception_fp_ieee_underflow 0
		.amdhsa_exception_fp_ieee_inexact 0
		.amdhsa_exception_int_div_zero 0
	.end_amdhsa_kernel
	.section	.text._ZN12_GLOBAL__N_141elementwise_kernel_with_index_grid_strideIiZZZN2at6native17linspace_cuda_outERKN3c106ScalarES6_lRNS1_6TensorEENKUlvE0_clEvENKUlvE3_clEvEUllE_EEvT_T0_PN15function_traitsISD_E11result_typeE,"axG",@progbits,_ZN12_GLOBAL__N_141elementwise_kernel_with_index_grid_strideIiZZZN2at6native17linspace_cuda_outERKN3c106ScalarES6_lRNS1_6TensorEENKUlvE0_clEvENKUlvE3_clEvEUllE_EEvT_T0_PN15function_traitsISD_E11result_typeE,comdat
.Lfunc_end18:
	.size	_ZN12_GLOBAL__N_141elementwise_kernel_with_index_grid_strideIiZZZN2at6native17linspace_cuda_outERKN3c106ScalarES6_lRNS1_6TensorEENKUlvE0_clEvENKUlvE3_clEvEUllE_EEvT_T0_PN15function_traitsISD_E11result_typeE, .Lfunc_end18-_ZN12_GLOBAL__N_141elementwise_kernel_with_index_grid_strideIiZZZN2at6native17linspace_cuda_outERKN3c106ScalarES6_lRNS1_6TensorEENKUlvE0_clEvENKUlvE3_clEvEUllE_EEvT_T0_PN15function_traitsISD_E11result_typeE
                                        ; -- End function
	.set _ZN12_GLOBAL__N_141elementwise_kernel_with_index_grid_strideIiZZZN2at6native17linspace_cuda_outERKN3c106ScalarES6_lRNS1_6TensorEENKUlvE0_clEvENKUlvE3_clEvEUllE_EEvT_T0_PN15function_traitsISD_E11result_typeE.num_vgpr, 18
	.set _ZN12_GLOBAL__N_141elementwise_kernel_with_index_grid_strideIiZZZN2at6native17linspace_cuda_outERKN3c106ScalarES6_lRNS1_6TensorEENKUlvE0_clEvENKUlvE3_clEvEUllE_EEvT_T0_PN15function_traitsISD_E11result_typeE.num_agpr, 0
	.set _ZN12_GLOBAL__N_141elementwise_kernel_with_index_grid_strideIiZZZN2at6native17linspace_cuda_outERKN3c106ScalarES6_lRNS1_6TensorEENKUlvE0_clEvENKUlvE3_clEvEUllE_EEvT_T0_PN15function_traitsISD_E11result_typeE.numbered_sgpr, 25
	.set _ZN12_GLOBAL__N_141elementwise_kernel_with_index_grid_strideIiZZZN2at6native17linspace_cuda_outERKN3c106ScalarES6_lRNS1_6TensorEENKUlvE0_clEvENKUlvE3_clEvEUllE_EEvT_T0_PN15function_traitsISD_E11result_typeE.num_named_barrier, 0
	.set _ZN12_GLOBAL__N_141elementwise_kernel_with_index_grid_strideIiZZZN2at6native17linspace_cuda_outERKN3c106ScalarES6_lRNS1_6TensorEENKUlvE0_clEvENKUlvE3_clEvEUllE_EEvT_T0_PN15function_traitsISD_E11result_typeE.private_seg_size, 0
	.set _ZN12_GLOBAL__N_141elementwise_kernel_with_index_grid_strideIiZZZN2at6native17linspace_cuda_outERKN3c106ScalarES6_lRNS1_6TensorEENKUlvE0_clEvENKUlvE3_clEvEUllE_EEvT_T0_PN15function_traitsISD_E11result_typeE.uses_vcc, 1
	.set _ZN12_GLOBAL__N_141elementwise_kernel_with_index_grid_strideIiZZZN2at6native17linspace_cuda_outERKN3c106ScalarES6_lRNS1_6TensorEENKUlvE0_clEvENKUlvE3_clEvEUllE_EEvT_T0_PN15function_traitsISD_E11result_typeE.uses_flat_scratch, 0
	.set _ZN12_GLOBAL__N_141elementwise_kernel_with_index_grid_strideIiZZZN2at6native17linspace_cuda_outERKN3c106ScalarES6_lRNS1_6TensorEENKUlvE0_clEvENKUlvE3_clEvEUllE_EEvT_T0_PN15function_traitsISD_E11result_typeE.has_dyn_sized_stack, 0
	.set _ZN12_GLOBAL__N_141elementwise_kernel_with_index_grid_strideIiZZZN2at6native17linspace_cuda_outERKN3c106ScalarES6_lRNS1_6TensorEENKUlvE0_clEvENKUlvE3_clEvEUllE_EEvT_T0_PN15function_traitsISD_E11result_typeE.has_recursion, 0
	.set _ZN12_GLOBAL__N_141elementwise_kernel_with_index_grid_strideIiZZZN2at6native17linspace_cuda_outERKN3c106ScalarES6_lRNS1_6TensorEENKUlvE0_clEvENKUlvE3_clEvEUllE_EEvT_T0_PN15function_traitsISD_E11result_typeE.has_indirect_call, 0
	.section	.AMDGPU.csdata,"",@progbits
; Kernel info:
; codeLenInByte = 1032
; TotalNumSgprs: 27
; NumVgprs: 18
; ScratchSize: 0
; MemoryBound: 0
; FloatMode: 240
; IeeeMode: 1
; LDSByteSize: 0 bytes/workgroup (compile time only)
; SGPRBlocks: 0
; VGPRBlocks: 2
; NumSGPRsForWavesPerEU: 27
; NumVGPRsForWavesPerEU: 18
; Occupancy: 16
; WaveLimiterHint : 0
; COMPUTE_PGM_RSRC2:SCRATCH_EN: 0
; COMPUTE_PGM_RSRC2:USER_SGPR: 6
; COMPUTE_PGM_RSRC2:TRAP_HANDLER: 0
; COMPUTE_PGM_RSRC2:TGID_X_EN: 1
; COMPUTE_PGM_RSRC2:TGID_Y_EN: 0
; COMPUTE_PGM_RSRC2:TGID_Z_EN: 0
; COMPUTE_PGM_RSRC2:TIDIG_COMP_CNT: 0
	.section	.text._ZN12_GLOBAL__N_141elementwise_kernel_with_index_grid_strideIlZZZN2at6native17linspace_cuda_outERKN3c106ScalarES6_lRNS1_6TensorEENKUlvE0_clEvENKUlvE3_clEvEUllE_EEvT_T0_PN15function_traitsISD_E11result_typeE,"axG",@progbits,_ZN12_GLOBAL__N_141elementwise_kernel_with_index_grid_strideIlZZZN2at6native17linspace_cuda_outERKN3c106ScalarES6_lRNS1_6TensorEENKUlvE0_clEvENKUlvE3_clEvEUllE_EEvT_T0_PN15function_traitsISD_E11result_typeE,comdat
	.globl	_ZN12_GLOBAL__N_141elementwise_kernel_with_index_grid_strideIlZZZN2at6native17linspace_cuda_outERKN3c106ScalarES6_lRNS1_6TensorEENKUlvE0_clEvENKUlvE3_clEvEUllE_EEvT_T0_PN15function_traitsISD_E11result_typeE ; -- Begin function _ZN12_GLOBAL__N_141elementwise_kernel_with_index_grid_strideIlZZZN2at6native17linspace_cuda_outERKN3c106ScalarES6_lRNS1_6TensorEENKUlvE0_clEvENKUlvE3_clEvEUllE_EEvT_T0_PN15function_traitsISD_E11result_typeE
	.p2align	8
	.type	_ZN12_GLOBAL__N_141elementwise_kernel_with_index_grid_strideIlZZZN2at6native17linspace_cuda_outERKN3c106ScalarES6_lRNS1_6TensorEENKUlvE0_clEvENKUlvE3_clEvEUllE_EEvT_T0_PN15function_traitsISD_E11result_typeE,@function
_ZN12_GLOBAL__N_141elementwise_kernel_with_index_grid_strideIlZZZN2at6native17linspace_cuda_outERKN3c106ScalarES6_lRNS1_6TensorEENKUlvE0_clEvENKUlvE3_clEvEUllE_EEvT_T0_PN15function_traitsISD_E11result_typeE: ; @_ZN12_GLOBAL__N_141elementwise_kernel_with_index_grid_strideIlZZZN2at6native17linspace_cuda_outERKN3c106ScalarES6_lRNS1_6TensorEENKUlvE0_clEvENKUlvE3_clEvEUllE_EEvT_T0_PN15function_traitsISD_E11result_typeE
; %bb.0:
	s_clause 0x1
	s_load_dword s7, s[4:5], 0x3c
	s_load_dwordx2 s[2:3], s[4:5], 0x0
	v_mov_b32_e32 v1, 0
	s_add_u32 s0, s4, 48
	s_addc_u32 s1, s5, 0
	s_waitcnt lgkmcnt(0)
	s_and_b32 s8, s7, 0xffff
	s_mov_b32 s7, exec_lo
	v_mad_u64_u32 v[2:3], null, s8, s6, v[0:1]
	v_cmpx_gt_i64_e64 s[2:3], v[2:3]
	s_cbranch_execz .LBB19_18
; %bb.1:
	s_load_dword s0, s[0:1], 0x0
	s_waitcnt lgkmcnt(0)
	s_add_u32 s1, s6, s0
	s_mul_hi_u32 s7, s8, s0
	v_mad_u64_u32 v[5:6], null, s1, s8, v[0:1]
	s_addc_u32 s1, 0, 0
	s_mul_i32 s6, s8, s0
	s_mov_b32 s0, exec_lo
	v_mov_b32_e32 v0, v6
	v_mad_u64_u32 v[7:8], null, s1, s8, v[0:1]
	v_mov_b32_e32 v6, v7
	v_cmp_gt_i64_e32 vcc_lo, s[2:3], v[5:6]
	v_cndmask_b32_e64 v4, 0, 1, vcc_lo
	v_cndmask_b32_e64 v0, v7, s3, vcc_lo
	;; [unrolled: 1-line block ×3, first 2 shown]
	v_add_co_u32 v5, vcc_lo, v5, v4
	v_add_co_ci_u32_e64 v7, null, 0, v7, vcc_lo
	v_sub_co_u32 v5, vcc_lo, v6, v5
	v_sub_co_ci_u32_e64 v6, null, v0, v7, vcc_lo
	v_mov_b32_e32 v7, v1
                                        ; implicit-def: $vgpr0_vgpr1
	v_or_b32_e32 v8, s7, v6
	v_cmpx_ne_u64_e32 0, v[7:8]
	s_xor_b32 s1, exec_lo, s0
	s_cbranch_execz .LBB19_3
; %bb.2:
	v_cvt_f32_u32_e32 v0, s6
	v_cvt_f32_u32_e32 v1, s7
	s_sub_u32 s9, 0, s6
	s_subb_u32 s10, 0, s7
	v_fmamk_f32 v0, v1, 0x4f800000, v0
	v_rcp_f32_e32 v0, v0
	v_mul_f32_e32 v0, 0x5f7ffffc, v0
	v_mul_f32_e32 v1, 0x2f800000, v0
	v_trunc_f32_e32 v1, v1
	v_fmamk_f32 v0, v1, 0xcf800000, v0
	v_cvt_u32_f32_e32 v1, v1
	v_cvt_u32_f32_e32 v0, v0
	v_readfirstlane_b32 s0, v1
	v_readfirstlane_b32 s8, v0
	s_mul_i32 s11, s9, s0
	s_mul_hi_u32 s13, s9, s8
	s_mul_i32 s12, s10, s8
	s_add_i32 s11, s13, s11
	s_mul_i32 s14, s9, s8
	s_add_i32 s11, s11, s12
	s_mul_hi_u32 s13, s8, s14
	s_mul_i32 s16, s8, s11
	s_mul_hi_u32 s15, s0, s14
	s_mul_i32 s12, s0, s14
	s_mul_hi_u32 s14, s8, s11
	s_add_u32 s13, s13, s16
	s_addc_u32 s14, 0, s14
	s_mul_hi_u32 s17, s0, s11
	s_add_u32 s12, s13, s12
	s_mul_i32 s11, s0, s11
	s_addc_u32 s12, s14, s15
	s_addc_u32 s13, s17, 0
	s_add_u32 s11, s12, s11
	s_addc_u32 s12, 0, s13
	s_add_u32 s8, s8, s11
	s_cselect_b32 s11, -1, 0
	s_mul_hi_u32 s13, s9, s8
	s_cmp_lg_u32 s11, 0
	s_mul_i32 s11, s9, s8
	s_addc_u32 s0, s0, s12
	s_mul_i32 s10, s10, s8
	s_mul_i32 s9, s9, s0
	s_mul_hi_u32 s12, s8, s11
	s_add_i32 s9, s13, s9
	s_mul_hi_u32 s13, s0, s11
	s_add_i32 s9, s9, s10
	s_mul_i32 s10, s0, s11
	s_mul_i32 s15, s8, s9
	s_mul_hi_u32 s14, s8, s9
	s_add_u32 s12, s12, s15
	s_addc_u32 s14, 0, s14
	s_mul_hi_u32 s11, s0, s9
	s_add_u32 s10, s12, s10
	s_mul_i32 s9, s0, s9
	s_addc_u32 s10, s14, s13
	s_addc_u32 s11, s11, 0
	s_add_u32 s9, s10, s9
	s_addc_u32 s10, 0, s11
	s_add_u32 s8, s8, s9
	s_cselect_b32 s9, -1, 0
	v_mul_hi_u32 v11, v5, s8
	s_cmp_lg_u32 s9, 0
	v_mad_u64_u32 v[7:8], null, v6, s8, 0
	s_addc_u32 s0, s0, s10
	v_mad_u64_u32 v[0:1], null, v5, s0, 0
	v_mad_u64_u32 v[9:10], null, v6, s0, 0
	v_add_co_u32 v0, vcc_lo, v11, v0
	v_add_co_ci_u32_e64 v1, null, 0, v1, vcc_lo
	v_add_co_u32 v0, vcc_lo, v0, v7
	v_add_co_ci_u32_e32 v0, vcc_lo, v1, v8, vcc_lo
	v_add_co_ci_u32_e32 v1, vcc_lo, 0, v10, vcc_lo
	v_add_co_u32 v7, vcc_lo, v0, v9
	v_add_co_ci_u32_e64 v8, null, 0, v1, vcc_lo
	v_mul_lo_u32 v9, s7, v7
	v_mad_u64_u32 v[0:1], null, s6, v7, 0
	v_mul_lo_u32 v10, s6, v8
	v_sub_co_u32 v0, vcc_lo, v5, v0
	v_add3_u32 v1, v1, v10, v9
	v_sub_nc_u32_e32 v9, v6, v1
	v_sub_co_ci_u32_e64 v1, null, v6, v1, vcc_lo
	v_subrev_co_ci_u32_e64 v5, null, s7, v9, vcc_lo
	v_add_co_u32 v9, s0, v7, 2
	v_add_co_ci_u32_e64 v10, null, 0, v8, s0
	v_sub_co_u32 v11, s0, v0, s6
	v_subrev_co_ci_u32_e64 v5, null, 0, v5, s0
	v_cmp_eq_u32_e64 s0, s7, v1
	v_cmp_le_u32_e32 vcc_lo, s6, v11
	v_cndmask_b32_e64 v6, 0, -1, vcc_lo
	v_cmp_le_u32_e32 vcc_lo, s7, v5
	v_cndmask_b32_e64 v11, 0, -1, vcc_lo
	;; [unrolled: 2-line block ×4, first 2 shown]
	v_cmp_eq_u32_e32 vcc_lo, s7, v5
	v_cndmask_b32_e64 v0, v12, v0, s0
	v_cndmask_b32_e32 v5, v11, v6, vcc_lo
	v_add_co_u32 v6, vcc_lo, v7, 1
	v_add_co_ci_u32_e64 v11, null, 0, v8, vcc_lo
	v_cmp_ne_u32_e32 vcc_lo, 0, v5
	v_cndmask_b32_e32 v1, v11, v10, vcc_lo
	v_cndmask_b32_e32 v5, v6, v9, vcc_lo
	v_cmp_ne_u32_e32 vcc_lo, 0, v0
	v_cndmask_b32_e32 v1, v8, v1, vcc_lo
	v_cndmask_b32_e32 v0, v7, v5, vcc_lo
                                        ; implicit-def: $vgpr5
.LBB19_3:
	s_or_saveexec_b32 s0, s1
	s_clause 0x2
	s_load_dword s20, s[4:5], 0x8
	s_load_dwordx2 s[12:13], s[4:5], 0x10
	s_load_dwordx4 s[8:11], s[4:5], 0x20
	s_xor_b32 exec_lo, exec_lo, s0
	s_cbranch_execz .LBB19_5
; %bb.4:
	v_cvt_f32_u32_e32 v0, s6
	s_sub_i32 s1, 0, s6
	v_rcp_iflag_f32_e32 v0, v0
	v_mul_f32_e32 v0, 0x4f7ffffe, v0
	v_cvt_u32_f32_e32 v0, v0
	v_mul_lo_u32 v1, s1, v0
	v_mul_hi_u32 v1, v0, v1
	v_add_nc_u32_e32 v0, v0, v1
	v_mul_hi_u32 v0, v5, v0
	v_mul_lo_u32 v1, v0, s6
	v_sub_nc_u32_e32 v1, v5, v1
	v_add_nc_u32_e32 v5, 1, v0
	v_subrev_nc_u32_e32 v6, s6, v1
	v_cmp_le_u32_e32 vcc_lo, s6, v1
	v_cndmask_b32_e32 v1, v1, v6, vcc_lo
	v_cndmask_b32_e32 v0, v0, v5, vcc_lo
	v_cmp_le_u32_e32 vcc_lo, s6, v1
	v_add_nc_u32_e32 v5, 1, v0
	v_mov_b32_e32 v1, 0
	v_cndmask_b32_e32 v0, v0, v5, vcc_lo
.LBB19_5:
	s_or_b32 exec_lo, exec_lo, s0
	s_load_dword s21, s[4:5], 0x18
	v_add_co_u32 v0, vcc_lo, v0, v4
	v_add_co_ci_u32_e64 v1, null, 0, v1, vcc_lo
	s_waitcnt lgkmcnt(0)
	s_lshr_b32 s22, s20, 16
	v_add_co_u32 v0, vcc_lo, v0, 1
	v_add_co_ci_u32_e64 v1, null, 0, v1, vcc_lo
	s_mov_b32 s0, 0
                                        ; implicit-def: $vgpr4_vgpr5
	s_mov_b32 s1, exec_lo
	v_cmpx_lt_u64_e32 1, v[0:1]
	s_xor_b32 s23, exec_lo, s1
	s_cbranch_execnz .LBB19_8
; %bb.6:
	s_andn2_saveexec_b32 s1, s23
	s_cbranch_execnz .LBB19_11
.LBB19_7:
	s_or_b32 exec_lo, exec_lo, s1
	s_and_b32 exec_lo, exec_lo, s0
	s_cbranch_execnz .LBB19_12
	s_branch .LBB19_18
.LBB19_8:
	v_lshlrev_b64 v[6:7], 1, v[2:3]
	v_add_co_u32 v4, vcc_lo, v2, s6
	v_mov_b32_e32 v9, v1
	v_add_co_ci_u32_e64 v5, null, s7, v3, vcc_lo
	v_and_b32_e32 v8, -2, v0
	v_add_co_u32 v10, vcc_lo, s10, v6
	v_add_co_ci_u32_e64 v11, null, s11, v7, vcc_lo
	v_mov_b32_e32 v13, v9
	v_mov_b32_e32 v7, v5
	;; [unrolled: 1-line block ×6, first 2 shown]
	s_lshl_b64 s[16:17], s[6:7], 1
	s_mov_b32 s4, s8
	s_mov_b32 s5, s9
	;; [unrolled: 1-line block ×6, first 2 shown]
	s_pack_ll_b32_b16 s26, s21, s21
	s_pack_ll_b32_b16 s27, s22, s22
	;; [unrolled: 1-line block ×3, first 2 shown]
	s_mov_b32 s29, s16
	s_mov_b32 s30, s17
	s_lshl_b64 s[18:19], s[6:7], 2
	s_mov_b32 s31, 0
.LBB19_9:                               ; =>This Inner Loop Header: Depth=1
	v_not_b32_e32 v16, v4
	v_add_co_u32 v14, vcc_lo, v10, s16
	v_not_b32_e32 v17, v5
	v_not_b32_e32 v18, v6
	v_add_co_ci_u32_e64 v15, null, s17, v11, vcc_lo
	v_add_co_u32 v12, vcc_lo, v12, -2
	v_not_b32_e32 v19, v7
	v_add_co_ci_u32_e64 v13, null, -1, v13, vcc_lo
	v_add_co_u32 v16, vcc_lo, s12, v16
	v_add_co_ci_u32_e64 v17, null, s13, v17, vcc_lo
	v_add_co_u32 v18, vcc_lo, s24, v18
	v_ffbh_u32_e32 v20, v5
	v_ffbh_u32_e32 v21, v7
	v_add_co_ci_u32_e64 v19, null, s25, v19, vcc_lo
	v_xor_b32_e32 v25, v16, v17
	v_min_u32_e32 v22, 32, v20
	v_min_u32_e32 v24, 32, v21
	v_xor_b32_e32 v27, v18, v19
	v_ffbh_i32_e32 v26, v17
	v_ffbh_i32_e32 v28, v19
	v_lshlrev_b64 v[20:21], v22, v[4:5]
	v_sub_nc_u32_e32 v29, 32, v22
	v_lshlrev_b64 v[22:23], v24, v[6:7]
	v_ashrrev_i32_e32 v25, 31, v25
	v_ashrrev_i32_e32 v27, 31, v27
	v_add_nc_u32_e32 v26, -1, v26
	v_add_nc_u32_e32 v28, -1, v28
	v_min_u32_e32 v20, 1, v20
	v_min_u32_e32 v22, 1, v22
	v_add_nc_u32_e32 v27, 32, v27
	v_add_nc_u32_e32 v25, 32, v25
	v_sub_nc_u32_e32 v24, 32, v24
	v_or_b32_e32 v20, v21, v20
	v_or_b32_e32 v21, v23, v22
	v_min_u32_e32 v22, v28, v27
	v_min_u32_e32 v23, v26, v25
	v_cmp_gt_i64_e64 s0, s[4:5], v[4:5]
	v_cvt_f32_u32_e32 v20, v20
	v_cvt_f32_u32_e32 v21, v21
	v_lshlrev_b64 v[18:19], v22, v[18:19]
	v_lshlrev_b64 v[16:17], v23, v[16:17]
	v_sub_nc_u32_e32 v23, 32, v23
	v_sub_nc_u32_e32 v22, 32, v22
	v_ldexp_f32 v21, v21, v24
	v_ldexp_f32 v20, v20, v29
	v_min_u32_e32 v18, 1, v18
	v_min_u32_e32 v16, 1, v16
	v_add_co_u32 v4, s1, v4, s16
	v_cvt_f16_f32_e32 v21, v21
	v_or_b32_e32 v18, v19, v18
	v_or_b32_e32 v16, v17, v16
	v_cvt_f16_f32_e32 v20, v20
	v_add_co_ci_u32_e64 v5, null, s17, v5, s1
	v_cvt_f32_i32_e32 v18, v18
	v_cvt_f32_i32_e32 v16, v16
	v_pack_b32_f16 v17, v20, v21
	v_cmp_gt_i64_e64 s1, s[14:15], v[6:7]
	v_cmp_eq_u64_e32 vcc_lo, 0, v[12:13]
	v_ldexp_f32 v18, v18, v22
	v_ldexp_f32 v16, v16, v23
	v_pk_fma_f16 v17, s26, v17, s28
	v_cvt_f16_f32_e32 v18, v18
	v_cvt_f16_f32_e32 v16, v16
	v_lshrrev_b32_e32 v19, 16, v17
	s_or_b32 s31, vcc_lo, s31
	v_pack_b32_f16 v16, v16, v18
	v_pk_fma_f16 v16, s26, v16, s27 neg_lo:[1,0,0] neg_hi:[1,0,0]
	v_lshrrev_b32_e32 v18, 16, v16
	v_cndmask_b32_e64 v16, v16, v17, s0
	v_add_co_u32 v6, s0, v6, s29
	v_add_co_ci_u32_e64 v7, null, s30, v7, s0
	global_store_short v[10:11], v16, off
	v_add_co_u32 v10, s0, v10, s18
	v_cndmask_b32_e64 v17, v18, v19, s1
	v_add_co_ci_u32_e64 v11, null, s19, v11, s0
	global_store_short v[14:15], v17, off
	s_andn2_b32 exec_lo, exec_lo, s31
	s_cbranch_execnz .LBB19_9
; %bb.10:
	s_or_b32 exec_lo, exec_lo, s31
	v_mad_u64_u32 v[2:3], null, v8, s6, v[2:3]
	v_mul_lo_u32 v4, v8, s7
	v_mul_lo_u32 v5, v9, s6
	v_cmp_ne_u64_e32 vcc_lo, v[0:1], v[8:9]
	s_and_b32 s0, vcc_lo, exec_lo
	v_add3_u32 v3, v5, v3, v4
	v_mov_b32_e32 v4, s16
	v_mov_b32_e32 v5, s17
	s_andn2_saveexec_b32 s1, s23
	s_cbranch_execz .LBB19_7
.LBB19_11:
	s_lshl_b64 s[4:5], s[6:7], 1
	s_or_b32 s0, s0, exec_lo
	v_mov_b32_e32 v4, s4
	v_mov_b32_e32 v5, s5
	s_or_b32 exec_lo, exec_lo, s1
	s_and_b32 exec_lo, exec_lo, s0
	s_cbranch_execz .LBB19_18
.LBB19_12:
	v_not_b32_e32 v0, v2
	v_lshlrev_b64 v[6:7], 1, v[2:3]
	v_not_b32_e32 v1, v3
	s_mov_b32 s1, 0
	v_add_co_u32 v0, vcc_lo, v0, s12
	v_add_co_ci_u32_e64 v1, null, s13, v1, vcc_lo
	v_add_co_u32 v6, vcc_lo, s10, v6
	v_add_co_ci_u32_e64 v7, null, s11, v7, vcc_lo
	s_branch .LBB19_14
.LBB19_13:                              ;   in Loop: Header=BB19_14 Depth=1
	s_or_b32 exec_lo, exec_lo, s0
	v_add_co_u32 v2, vcc_lo, v2, s6
	v_add_co_ci_u32_e64 v3, null, s7, v3, vcc_lo
	v_sub_co_u32 v0, vcc_lo, v0, s6
	v_subrev_co_ci_u32_e64 v1, null, s7, v1, vcc_lo
	v_cmp_le_i64_e32 vcc_lo, s[2:3], v[2:3]
	global_store_short v[6:7], v8, off
	v_add_co_u32 v6, s0, v6, v4
	v_add_co_ci_u32_e64 v7, null, v7, v5, s0
	s_or_b32 s1, vcc_lo, s1
	s_andn2_b32 exec_lo, exec_lo, s1
	s_cbranch_execz .LBB19_18
.LBB19_14:                              ; =>This Inner Loop Header: Depth=1
	s_mov_b32 s0, exec_lo
                                        ; implicit-def: $vgpr8
	v_cmpx_le_i64_e64 s[8:9], v[2:3]
	s_xor_b32 s0, exec_lo, s0
	s_cbranch_execz .LBB19_16
; %bb.15:                               ;   in Loop: Header=BB19_14 Depth=1
	v_xor_b32_e32 v8, v0, v1
	v_ffbh_i32_e32 v9, v1
	v_ashrrev_i32_e32 v8, 31, v8
	v_add_nc_u32_e32 v9, -1, v9
	v_add_nc_u32_e32 v8, 32, v8
	v_min_u32_e32 v10, v9, v8
	v_lshlrev_b64 v[8:9], v10, v[0:1]
	v_min_u32_e32 v8, 1, v8
	v_or_b32_e32 v8, v9, v8
	v_sub_nc_u32_e32 v9, 32, v10
	v_cvt_f32_i32_e32 v8, v8
	v_ldexp_f32 v8, v8, v9
	v_cvt_f16_f32_e32 v8, v8
	v_fma_f16 v8, -s21, v8, s22
.LBB19_16:                              ;   in Loop: Header=BB19_14 Depth=1
	s_andn2_saveexec_b32 s0, s0
	s_cbranch_execz .LBB19_13
; %bb.17:                               ;   in Loop: Header=BB19_14 Depth=1
	v_ffbh_u32_e32 v8, v3
	v_min_u32_e32 v10, 32, v8
	v_lshlrev_b64 v[8:9], v10, v[2:3]
	v_min_u32_e32 v8, 1, v8
	v_or_b32_e32 v8, v9, v8
	v_sub_nc_u32_e32 v9, 32, v10
	v_cvt_f32_u32_e32 v8, v8
	v_ldexp_f32 v8, v8, v9
	v_cvt_f16_f32_e32 v8, v8
	v_fma_f16 v8, s21, v8, s20
	s_branch .LBB19_13
.LBB19_18:
	s_endpgm
	.section	.rodata,"a",@progbits
	.p2align	6, 0x0
	.amdhsa_kernel _ZN12_GLOBAL__N_141elementwise_kernel_with_index_grid_strideIlZZZN2at6native17linspace_cuda_outERKN3c106ScalarES6_lRNS1_6TensorEENKUlvE0_clEvENKUlvE3_clEvEUllE_EEvT_T0_PN15function_traitsISD_E11result_typeE
		.amdhsa_group_segment_fixed_size 0
		.amdhsa_private_segment_fixed_size 0
		.amdhsa_kernarg_size 304
		.amdhsa_user_sgpr_count 6
		.amdhsa_user_sgpr_private_segment_buffer 1
		.amdhsa_user_sgpr_dispatch_ptr 0
		.amdhsa_user_sgpr_queue_ptr 0
		.amdhsa_user_sgpr_kernarg_segment_ptr 1
		.amdhsa_user_sgpr_dispatch_id 0
		.amdhsa_user_sgpr_flat_scratch_init 0
		.amdhsa_user_sgpr_private_segment_size 0
		.amdhsa_wavefront_size32 1
		.amdhsa_uses_dynamic_stack 0
		.amdhsa_system_sgpr_private_segment_wavefront_offset 0
		.amdhsa_system_sgpr_workgroup_id_x 1
		.amdhsa_system_sgpr_workgroup_id_y 0
		.amdhsa_system_sgpr_workgroup_id_z 0
		.amdhsa_system_sgpr_workgroup_info 0
		.amdhsa_system_vgpr_workitem_id 0
		.amdhsa_next_free_vgpr 30
		.amdhsa_next_free_sgpr 32
		.amdhsa_reserve_vcc 1
		.amdhsa_reserve_flat_scratch 0
		.amdhsa_float_round_mode_32 0
		.amdhsa_float_round_mode_16_64 0
		.amdhsa_float_denorm_mode_32 3
		.amdhsa_float_denorm_mode_16_64 3
		.amdhsa_dx10_clamp 1
		.amdhsa_ieee_mode 1
		.amdhsa_fp16_overflow 0
		.amdhsa_workgroup_processor_mode 1
		.amdhsa_memory_ordered 1
		.amdhsa_forward_progress 1
		.amdhsa_shared_vgpr_count 0
		.amdhsa_exception_fp_ieee_invalid_op 0
		.amdhsa_exception_fp_denorm_src 0
		.amdhsa_exception_fp_ieee_div_zero 0
		.amdhsa_exception_fp_ieee_overflow 0
		.amdhsa_exception_fp_ieee_underflow 0
		.amdhsa_exception_fp_ieee_inexact 0
		.amdhsa_exception_int_div_zero 0
	.end_amdhsa_kernel
	.section	.text._ZN12_GLOBAL__N_141elementwise_kernel_with_index_grid_strideIlZZZN2at6native17linspace_cuda_outERKN3c106ScalarES6_lRNS1_6TensorEENKUlvE0_clEvENKUlvE3_clEvEUllE_EEvT_T0_PN15function_traitsISD_E11result_typeE,"axG",@progbits,_ZN12_GLOBAL__N_141elementwise_kernel_with_index_grid_strideIlZZZN2at6native17linspace_cuda_outERKN3c106ScalarES6_lRNS1_6TensorEENKUlvE0_clEvENKUlvE3_clEvEUllE_EEvT_T0_PN15function_traitsISD_E11result_typeE,comdat
.Lfunc_end19:
	.size	_ZN12_GLOBAL__N_141elementwise_kernel_with_index_grid_strideIlZZZN2at6native17linspace_cuda_outERKN3c106ScalarES6_lRNS1_6TensorEENKUlvE0_clEvENKUlvE3_clEvEUllE_EEvT_T0_PN15function_traitsISD_E11result_typeE, .Lfunc_end19-_ZN12_GLOBAL__N_141elementwise_kernel_with_index_grid_strideIlZZZN2at6native17linspace_cuda_outERKN3c106ScalarES6_lRNS1_6TensorEENKUlvE0_clEvENKUlvE3_clEvEUllE_EEvT_T0_PN15function_traitsISD_E11result_typeE
                                        ; -- End function
	.set _ZN12_GLOBAL__N_141elementwise_kernel_with_index_grid_strideIlZZZN2at6native17linspace_cuda_outERKN3c106ScalarES6_lRNS1_6TensorEENKUlvE0_clEvENKUlvE3_clEvEUllE_EEvT_T0_PN15function_traitsISD_E11result_typeE.num_vgpr, 30
	.set _ZN12_GLOBAL__N_141elementwise_kernel_with_index_grid_strideIlZZZN2at6native17linspace_cuda_outERKN3c106ScalarES6_lRNS1_6TensorEENKUlvE0_clEvENKUlvE3_clEvEUllE_EEvT_T0_PN15function_traitsISD_E11result_typeE.num_agpr, 0
	.set _ZN12_GLOBAL__N_141elementwise_kernel_with_index_grid_strideIlZZZN2at6native17linspace_cuda_outERKN3c106ScalarES6_lRNS1_6TensorEENKUlvE0_clEvENKUlvE3_clEvEUllE_EEvT_T0_PN15function_traitsISD_E11result_typeE.numbered_sgpr, 32
	.set _ZN12_GLOBAL__N_141elementwise_kernel_with_index_grid_strideIlZZZN2at6native17linspace_cuda_outERKN3c106ScalarES6_lRNS1_6TensorEENKUlvE0_clEvENKUlvE3_clEvEUllE_EEvT_T0_PN15function_traitsISD_E11result_typeE.num_named_barrier, 0
	.set _ZN12_GLOBAL__N_141elementwise_kernel_with_index_grid_strideIlZZZN2at6native17linspace_cuda_outERKN3c106ScalarES6_lRNS1_6TensorEENKUlvE0_clEvENKUlvE3_clEvEUllE_EEvT_T0_PN15function_traitsISD_E11result_typeE.private_seg_size, 0
	.set _ZN12_GLOBAL__N_141elementwise_kernel_with_index_grid_strideIlZZZN2at6native17linspace_cuda_outERKN3c106ScalarES6_lRNS1_6TensorEENKUlvE0_clEvENKUlvE3_clEvEUllE_EEvT_T0_PN15function_traitsISD_E11result_typeE.uses_vcc, 1
	.set _ZN12_GLOBAL__N_141elementwise_kernel_with_index_grid_strideIlZZZN2at6native17linspace_cuda_outERKN3c106ScalarES6_lRNS1_6TensorEENKUlvE0_clEvENKUlvE3_clEvEUllE_EEvT_T0_PN15function_traitsISD_E11result_typeE.uses_flat_scratch, 0
	.set _ZN12_GLOBAL__N_141elementwise_kernel_with_index_grid_strideIlZZZN2at6native17linspace_cuda_outERKN3c106ScalarES6_lRNS1_6TensorEENKUlvE0_clEvENKUlvE3_clEvEUllE_EEvT_T0_PN15function_traitsISD_E11result_typeE.has_dyn_sized_stack, 0
	.set _ZN12_GLOBAL__N_141elementwise_kernel_with_index_grid_strideIlZZZN2at6native17linspace_cuda_outERKN3c106ScalarES6_lRNS1_6TensorEENKUlvE0_clEvENKUlvE3_clEvEUllE_EEvT_T0_PN15function_traitsISD_E11result_typeE.has_recursion, 0
	.set _ZN12_GLOBAL__N_141elementwise_kernel_with_index_grid_strideIlZZZN2at6native17linspace_cuda_outERKN3c106ScalarES6_lRNS1_6TensorEENKUlvE0_clEvENKUlvE3_clEvEUllE_EEvT_T0_PN15function_traitsISD_E11result_typeE.has_indirect_call, 0
	.section	.AMDGPU.csdata,"",@progbits
; Kernel info:
; codeLenInByte = 1932
; TotalNumSgprs: 34
; NumVgprs: 30
; ScratchSize: 0
; MemoryBound: 0
; FloatMode: 240
; IeeeMode: 1
; LDSByteSize: 0 bytes/workgroup (compile time only)
; SGPRBlocks: 0
; VGPRBlocks: 3
; NumSGPRsForWavesPerEU: 34
; NumVGPRsForWavesPerEU: 30
; Occupancy: 16
; WaveLimiterHint : 0
; COMPUTE_PGM_RSRC2:SCRATCH_EN: 0
; COMPUTE_PGM_RSRC2:USER_SGPR: 6
; COMPUTE_PGM_RSRC2:TRAP_HANDLER: 0
; COMPUTE_PGM_RSRC2:TGID_X_EN: 1
; COMPUTE_PGM_RSRC2:TGID_Y_EN: 0
; COMPUTE_PGM_RSRC2:TGID_Z_EN: 0
; COMPUTE_PGM_RSRC2:TIDIG_COMP_CNT: 0
	.section	.text._ZN12_GLOBAL__N_141elementwise_kernel_with_index_grid_strideIiZZZN2at6native17linspace_cuda_outERKN3c106ScalarES6_lRNS1_6TensorEENKUlvE0_clEvENKUlvE4_clEvEUllE_EEvT_T0_PN15function_traitsISD_E11result_typeE,"axG",@progbits,_ZN12_GLOBAL__N_141elementwise_kernel_with_index_grid_strideIiZZZN2at6native17linspace_cuda_outERKN3c106ScalarES6_lRNS1_6TensorEENKUlvE0_clEvENKUlvE4_clEvEUllE_EEvT_T0_PN15function_traitsISD_E11result_typeE,comdat
	.globl	_ZN12_GLOBAL__N_141elementwise_kernel_with_index_grid_strideIiZZZN2at6native17linspace_cuda_outERKN3c106ScalarES6_lRNS1_6TensorEENKUlvE0_clEvENKUlvE4_clEvEUllE_EEvT_T0_PN15function_traitsISD_E11result_typeE ; -- Begin function _ZN12_GLOBAL__N_141elementwise_kernel_with_index_grid_strideIiZZZN2at6native17linspace_cuda_outERKN3c106ScalarES6_lRNS1_6TensorEENKUlvE0_clEvENKUlvE4_clEvEUllE_EEvT_T0_PN15function_traitsISD_E11result_typeE
	.p2align	8
	.type	_ZN12_GLOBAL__N_141elementwise_kernel_with_index_grid_strideIiZZZN2at6native17linspace_cuda_outERKN3c106ScalarES6_lRNS1_6TensorEENKUlvE0_clEvENKUlvE4_clEvEUllE_EEvT_T0_PN15function_traitsISD_E11result_typeE,@function
_ZN12_GLOBAL__N_141elementwise_kernel_with_index_grid_strideIiZZZN2at6native17linspace_cuda_outERKN3c106ScalarES6_lRNS1_6TensorEENKUlvE0_clEvENKUlvE4_clEvEUllE_EEvT_T0_PN15function_traitsISD_E11result_typeE: ; @_ZN12_GLOBAL__N_141elementwise_kernel_with_index_grid_strideIiZZZN2at6native17linspace_cuda_outERKN3c106ScalarES6_lRNS1_6TensorEENKUlvE0_clEvENKUlvE4_clEvEUllE_EEvT_T0_PN15function_traitsISD_E11result_typeE
; %bb.0:
	s_clause 0x1
	s_load_dword s2, s[4:5], 0x3c
	s_load_dword s14, s[4:5], 0x0
	s_add_u32 s0, s4, 48
	s_addc_u32 s1, s5, 0
	s_waitcnt lgkmcnt(0)
	s_and_b32 s3, s2, 0xffff
	s_mov_b32 s2, exec_lo
	v_mad_u64_u32 v[1:2], null, s6, s3, v[0:1]
	v_cmpx_gt_i32_e64 s14, v1
	s_cbranch_execz .LBB20_12
; %bb.1:
	s_load_dword s0, s[0:1], 0x0
	s_mov_b32 s18, 0
	s_waitcnt lgkmcnt(0)
	s_mul_i32 s2, s0, s3
	s_add_i32 s0, s6, s0
	v_cvt_f32_u32_e32 v2, s2
	s_sub_i32 s1, 0, s2
	s_mul_i32 s0, s0, s3
	v_add_nc_u32_e32 v4, s0, v0
	v_rcp_iflag_f32_e32 v2, v2
	v_cmp_gt_i32_e32 vcc_lo, s14, v4
	v_max_i32_e32 v5, s14, v4
	v_add_co_ci_u32_e64 v0, null, s0, v0, vcc_lo
	v_mul_f32_e32 v2, 0x4f7ffffe, v2
	v_sub_nc_u32_e32 v0, v5, v0
	v_cvt_u32_f32_e32 v2, v2
	v_mul_lo_u32 v3, s1, v2
	s_clause 0x3
	s_load_dword s1, s[4:5], 0x18
	s_load_dword s3, s[4:5], 0x8
	s_load_dwordx2 s[8:9], s[4:5], 0x10
	s_load_dwordx4 s[4:7], s[4:5], 0x20
	v_mul_hi_u32 v3, v2, v3
	v_add_nc_u32_e32 v2, v2, v3
	s_waitcnt lgkmcnt(0)
	s_pack_lh_b32_b16 s16, 0, s3
	v_mul_hi_u32 v2, v0, v2
	s_lshl_b32 s15, s1, 16
	s_lshl_b32 s17, s3, 16
	s_mov_b32 s3, exec_lo
	v_mul_lo_u32 v3, v2, s2
	v_sub_nc_u32_e32 v0, v0, v3
	v_add_nc_u32_e32 v3, 1, v2
	v_subrev_nc_u32_e32 v4, s2, v0
	v_cmp_le_u32_e64 s0, s2, v0
	v_cndmask_b32_e64 v2, v2, v3, s0
	v_cndmask_b32_e64 v0, v0, v4, s0
	v_add_nc_u32_e32 v3, 1, v2
	v_cmp_le_u32_e64 s0, s2, v0
	v_cndmask_b32_e64 v0, v2, v3, s0
	s_mov_b32 s0, -1
	v_add_co_ci_u32_e64 v0, null, 1, v0, vcc_lo
	v_cmpx_lt_u32_e32 1, v0
	s_cbranch_execz .LBB20_5
; %bb.2:
	v_add_nc_u32_e32 v2, s2, v1
	v_and_b32_e32 v4, -2, v0
	v_mov_b32_e32 v5, 1
	s_lshl_b32 s23, s2, 1
	s_mov_b32 s19, s15
	v_mov_b32_e32 v3, v2
	v_mov_b32_e32 v6, v4
	v_mov_b32_e32 v2, v1
	s_mov_b32 s20, s16
	s_mov_b32 s21, s17
	;; [unrolled: 1-line block ×9, first 2 shown]
.LBB20_3:                               ; =>This Inner Loop Header: Depth=1
	v_xor_b32_e32 v9, -1, v2
	v_xor_b32_e32 v10, -1, v3
	v_cvt_f32_i32_e32 v19, v2
	v_cvt_f32_i32_e32 v20, v3
	v_ashrrev_i32_e32 v8, 31, v2
	v_ashrrev_i32_e32 v13, 31, v9
	;; [unrolled: 1-line block ×3, first 2 shown]
	v_add_co_u32 v9, vcc_lo, s8, v9
	v_add_co_u32 v11, s0, s22, v10
	v_add_co_ci_u32_e64 v12, null, s24, v12, s0
	v_add_co_ci_u32_e64 v10, null, s9, v13, vcc_lo
	v_and_b32_sdwa v23, v20, v5 dst_sel:DWORD dst_unused:UNUSED_PAD src0_sel:WORD_1 src1_sel:DWORD
	v_xor_b32_e32 v15, v11, v12
	v_ffbh_i32_e32 v18, v12
	v_xor_b32_e32 v16, v9, v10
	v_ffbh_i32_e32 v17, v10
	v_and_b32_sdwa v24, v19, v5 dst_sel:DWORD dst_unused:UNUSED_PAD src0_sel:WORD_1 src1_sel:DWORD
	v_ashrrev_i32_e32 v15, 31, v15
	v_add_nc_u32_e32 v18, -1, v18
	v_ashrrev_i32_e32 v16, 31, v16
	v_add_nc_u32_e32 v17, -1, v17
	v_add3_u32 v20, v20, v23, 0x7fff
	v_add_nc_u32_e32 v15, 32, v15
	v_add3_u32 v19, v19, v24, 0x7fff
	v_add_nc_u32_e32 v16, 32, v16
	v_mov_b32_e32 v7, v2
	v_ashrrev_i32_e32 v14, 31, v3
	v_min_u32_e32 v21, v18, v15
	v_mov_b32_e32 v13, v3
	v_min_u32_e32 v22, v17, v16
	v_lshlrev_b64 v[15:16], 1, v[7:8]
	v_add_nc_u32_e32 v6, -2, v6
	v_lshlrev_b64 v[11:12], v21, v[11:12]
	v_lshlrev_b64 v[17:18], 1, v[13:14]
	;; [unrolled: 1-line block ×3, first 2 shown]
	v_add_nc_u32_e32 v3, s25, v3
	v_cmp_eq_u32_e32 vcc_lo, 0, v6
	v_add_nc_u32_e32 v2, s23, v2
	v_min_u32_e32 v11, 1, v11
	v_min_u32_e32 v9, 1, v9
	s_or_b32 s18, vcc_lo, s18
	v_or_b32_e32 v11, v12, v11
	v_sub_nc_u32_e32 v12, 32, v21
	v_or_b32_e32 v9, v10, v9
	v_sub_nc_u32_e32 v10, 32, v22
	v_cvt_f32_i32_e32 v11, v11
	v_cvt_f32_i32_e32 v9, v9
	v_ldexp_f32 v11, v11, v12
	v_and_b32_e32 v12, 0xffff0000, v19
	v_ldexp_f32 v9, v9, v10
	v_and_b32_e32 v10, 0xffff0000, v20
	v_and_b32_sdwa v19, v11, v5 dst_sel:DWORD dst_unused:UNUSED_PAD src0_sel:WORD_1 src1_sel:DWORD
	v_mul_f32_e32 v12, s15, v12
	v_and_b32_sdwa v20, v9, v5 dst_sel:DWORD dst_unused:UNUSED_PAD src0_sel:WORD_1 src1_sel:DWORD
	v_mul_f32_e32 v10, s19, v10
	v_add3_u32 v11, v11, v19, 0x7fff
	v_cmp_o_f32_e64 s0, v12, v12
	v_add3_u32 v9, v9, v20, 0x7fff
	v_and_b32_sdwa v19, v10, v5 dst_sel:DWORD dst_unused:UNUSED_PAD src0_sel:WORD_1 src1_sel:DWORD
	v_and_b32_sdwa v20, v12, v5 dst_sel:DWORD dst_unused:UNUSED_PAD src0_sel:WORD_1 src1_sel:DWORD
	v_and_b32_e32 v11, 0xffff0000, v11
	v_cmp_o_f32_e64 s1, v10, v10
	v_and_b32_e32 v9, 0xffff0000, v9
	v_add3_u32 v19, v10, v19, 0x7fff
	v_add3_u32 v20, v12, v20, 0x7fff
	v_mul_f32_e32 v11, s19, v11
	v_mul_f32_e32 v9, s15, v9
	v_and_b32_e32 v19, 0xffff0000, v19
	v_and_b32_e32 v20, 0xffff0000, v20
	v_and_b32_sdwa v21, v11, v5 dst_sel:DWORD dst_unused:UNUSED_PAD src0_sel:WORD_1 src1_sel:DWORD
	v_and_b32_sdwa v22, v9, v5 dst_sel:DWORD dst_unused:UNUSED_PAD src0_sel:WORD_1 src1_sel:DWORD
	v_cndmask_b32_e64 v19, 0x7fc00000, v19, s1
	v_cndmask_b32_e64 v20, 0x7fc00000, v20, s0
	v_add3_u32 v10, v11, v21, 0x7fff
	v_cmp_o_f32_e64 s0, v9, v9
	v_add3_u32 v12, v9, v22, 0x7fff
	v_cmp_o_f32_e64 s1, v11, v11
	v_add_f32_e32 v11, s21, v19
	v_and_b32_e32 v10, 0xffff0000, v10
	v_and_b32_e32 v12, 0xffff0000, v12
	v_cndmask_b32_e64 v9, 0x7fc00000, v10, s1
	v_cmp_gt_i64_e64 s1, s[12:13], v[13:14]
	v_cndmask_b32_e64 v10, 0x7fc00000, v12, s0
	v_cmp_gt_i64_e64 s0, s[10:11], v[7:8]
	v_add_f32_e32 v12, s17, v20
	v_sub_f32_e32 v9, s20, v9
	v_sub_f32_e32 v10, s16, v10
	v_cndmask_b32_e64 v11, v9, v11, s1
	v_cndmask_b32_e64 v12, v10, v12, s0
	v_add_co_u32 v7, s0, s6, v15
	v_and_b32_sdwa v9, v11, v5 dst_sel:DWORD dst_unused:UNUSED_PAD src0_sel:WORD_1 src1_sel:DWORD
	v_add_co_ci_u32_e64 v8, null, s7, v16, s0
	v_and_b32_sdwa v10, v12, v5 dst_sel:DWORD dst_unused:UNUSED_PAD src0_sel:WORD_1 src1_sel:DWORD
	v_cmp_o_f32_e64 s1, v12, v12
	v_add3_u32 v13, v11, v9, 0x7fff
	v_add_co_u32 v9, s0, s6, v17
	v_add3_u32 v10, v12, v10, 0x7fff
	v_lshrrev_b32_e32 v13, 16, v13
	v_lshrrev_b32_e32 v14, 16, v10
	v_add_co_ci_u32_e64 v10, null, s7, v18, s0
	v_cmp_o_f32_e64 s0, v11, v11
	v_cndmask_b32_e64 v11, 0x7fc0, v14, s1
	v_cndmask_b32_e64 v12, 0x7fc0, v13, s0
	global_store_short v[7:8], v11, off
	global_store_short v[9:10], v12, off
	s_andn2_b32 exec_lo, exec_lo, s18
	s_cbranch_execnz .LBB20_3
; %bb.4:
	s_or_b32 exec_lo, exec_lo, s18
	v_mad_u64_u32 v[1:2], null, v4, s2, v[1:2]
	v_cmp_ne_u32_e32 vcc_lo, v0, v4
	s_orn2_b32 s0, vcc_lo, exec_lo
.LBB20_5:
	s_or_b32 exec_lo, exec_lo, s3
	s_and_b32 exec_lo, exec_lo, s0
	s_cbranch_execz .LBB20_12
; %bb.6:
	v_ashrrev_i32_e32 v2, 31, v1
	v_not_b32_e32 v0, v1
	s_ashr_i32 s3, s2, 31
	s_mov_b32 s1, 0
	v_lshlrev_b64 v[5:6], 1, v[1:2]
	v_not_b32_e32 v4, v2
	v_add_co_u32 v3, vcc_lo, v0, s8
	v_mov_b32_e32 v0, 0x7fc0
	v_add_co_ci_u32_e64 v4, null, s9, v4, vcc_lo
	v_add_co_u32 v5, vcc_lo, s6, v5
	v_add_co_ci_u32_e64 v6, null, s7, v6, vcc_lo
	s_lshl_b64 s[6:7], s[2:3], 1
	s_branch .LBB20_8
.LBB20_7:                               ;   in Loop: Header=BB20_8 Depth=1
	s_or_b32 exec_lo, exec_lo, s0
	v_bfe_u32 v8, v7, 16, 1
	v_cmp_o_f32_e32 vcc_lo, v7, v7
	v_add_co_u32 v1, s0, v1, s2
	v_add_co_ci_u32_e64 v2, null, s3, v2, s0
	v_add3_u32 v7, v7, v8, 0x7fff
	v_cndmask_b32_sdwa v7, v0, v7, vcc_lo dst_sel:DWORD dst_unused:UNUSED_PAD src0_sel:DWORD src1_sel:WORD_1
	v_sub_co_u32 v3, vcc_lo, v3, s2
	v_subrev_co_ci_u32_e64 v4, null, s3, v4, vcc_lo
	v_cmp_le_i32_e32 vcc_lo, s14, v1
	global_store_short v[5:6], v7, off
	v_add_co_u32 v5, s0, v5, s6
	v_add_co_ci_u32_e64 v6, null, s7, v6, s0
	s_or_b32 s1, vcc_lo, s1
	s_andn2_b32 exec_lo, exec_lo, s1
	s_cbranch_execz .LBB20_12
.LBB20_8:                               ; =>This Inner Loop Header: Depth=1
	s_mov_b32 s0, exec_lo
                                        ; implicit-def: $vgpr7
	v_cmpx_le_i64_e64 s[4:5], v[1:2]
	s_xor_b32 s0, exec_lo, s0
	s_cbranch_execz .LBB20_10
; %bb.9:                                ;   in Loop: Header=BB20_8 Depth=1
	v_xor_b32_e32 v7, v3, v4
	v_ffbh_i32_e32 v8, v4
	v_ashrrev_i32_e32 v7, 31, v7
	v_add_nc_u32_e32 v8, -1, v8
	v_add_nc_u32_e32 v7, 32, v7
	v_min_u32_e32 v9, v8, v7
	v_lshlrev_b64 v[7:8], v9, v[3:4]
	v_min_u32_e32 v7, 1, v7
	v_or_b32_e32 v7, v8, v7
	v_sub_nc_u32_e32 v8, 32, v9
	v_cvt_f32_i32_e32 v7, v7
	v_ldexp_f32 v7, v7, v8
	v_bfe_u32 v8, v7, 16, 1
	v_add3_u32 v7, v7, v8, 0x7fff
	v_and_b32_e32 v7, 0xffff0000, v7
	v_mul_f32_e32 v7, s15, v7
	v_bfe_u32 v8, v7, 16, 1
	v_cmp_o_f32_e32 vcc_lo, v7, v7
	v_add3_u32 v8, v7, v8, 0x7fff
	v_and_b32_e32 v8, 0xffff0000, v8
	v_cndmask_b32_e32 v7, 0x7fc00000, v8, vcc_lo
	v_sub_f32_e32 v7, s16, v7
.LBB20_10:                              ;   in Loop: Header=BB20_8 Depth=1
	s_andn2_saveexec_b32 s0, s0
	s_cbranch_execz .LBB20_7
; %bb.11:                               ;   in Loop: Header=BB20_8 Depth=1
	v_cvt_f32_i32_e32 v7, v1
	v_bfe_u32 v8, v7, 16, 1
	v_add3_u32 v7, v7, v8, 0x7fff
	v_and_b32_e32 v7, 0xffff0000, v7
	v_mul_f32_e32 v7, s15, v7
	v_bfe_u32 v8, v7, 16, 1
	v_cmp_o_f32_e32 vcc_lo, v7, v7
	v_add3_u32 v8, v7, v8, 0x7fff
	v_and_b32_e32 v8, 0xffff0000, v8
	v_cndmask_b32_e32 v7, 0x7fc00000, v8, vcc_lo
	v_add_f32_e32 v7, s17, v7
	s_branch .LBB20_7
.LBB20_12:
	s_endpgm
	.section	.rodata,"a",@progbits
	.p2align	6, 0x0
	.amdhsa_kernel _ZN12_GLOBAL__N_141elementwise_kernel_with_index_grid_strideIiZZZN2at6native17linspace_cuda_outERKN3c106ScalarES6_lRNS1_6TensorEENKUlvE0_clEvENKUlvE4_clEvEUllE_EEvT_T0_PN15function_traitsISD_E11result_typeE
		.amdhsa_group_segment_fixed_size 0
		.amdhsa_private_segment_fixed_size 0
		.amdhsa_kernarg_size 304
		.amdhsa_user_sgpr_count 6
		.amdhsa_user_sgpr_private_segment_buffer 1
		.amdhsa_user_sgpr_dispatch_ptr 0
		.amdhsa_user_sgpr_queue_ptr 0
		.amdhsa_user_sgpr_kernarg_segment_ptr 1
		.amdhsa_user_sgpr_dispatch_id 0
		.amdhsa_user_sgpr_flat_scratch_init 0
		.amdhsa_user_sgpr_private_segment_size 0
		.amdhsa_wavefront_size32 1
		.amdhsa_uses_dynamic_stack 0
		.amdhsa_system_sgpr_private_segment_wavefront_offset 0
		.amdhsa_system_sgpr_workgroup_id_x 1
		.amdhsa_system_sgpr_workgroup_id_y 0
		.amdhsa_system_sgpr_workgroup_id_z 0
		.amdhsa_system_sgpr_workgroup_info 0
		.amdhsa_system_vgpr_workitem_id 0
		.amdhsa_next_free_vgpr 25
		.amdhsa_next_free_sgpr 26
		.amdhsa_reserve_vcc 1
		.amdhsa_reserve_flat_scratch 0
		.amdhsa_float_round_mode_32 0
		.amdhsa_float_round_mode_16_64 0
		.amdhsa_float_denorm_mode_32 3
		.amdhsa_float_denorm_mode_16_64 3
		.amdhsa_dx10_clamp 1
		.amdhsa_ieee_mode 1
		.amdhsa_fp16_overflow 0
		.amdhsa_workgroup_processor_mode 1
		.amdhsa_memory_ordered 1
		.amdhsa_forward_progress 1
		.amdhsa_shared_vgpr_count 0
		.amdhsa_exception_fp_ieee_invalid_op 0
		.amdhsa_exception_fp_denorm_src 0
		.amdhsa_exception_fp_ieee_div_zero 0
		.amdhsa_exception_fp_ieee_overflow 0
		.amdhsa_exception_fp_ieee_underflow 0
		.amdhsa_exception_fp_ieee_inexact 0
		.amdhsa_exception_int_div_zero 0
	.end_amdhsa_kernel
	.section	.text._ZN12_GLOBAL__N_141elementwise_kernel_with_index_grid_strideIiZZZN2at6native17linspace_cuda_outERKN3c106ScalarES6_lRNS1_6TensorEENKUlvE0_clEvENKUlvE4_clEvEUllE_EEvT_T0_PN15function_traitsISD_E11result_typeE,"axG",@progbits,_ZN12_GLOBAL__N_141elementwise_kernel_with_index_grid_strideIiZZZN2at6native17linspace_cuda_outERKN3c106ScalarES6_lRNS1_6TensorEENKUlvE0_clEvENKUlvE4_clEvEUllE_EEvT_T0_PN15function_traitsISD_E11result_typeE,comdat
.Lfunc_end20:
	.size	_ZN12_GLOBAL__N_141elementwise_kernel_with_index_grid_strideIiZZZN2at6native17linspace_cuda_outERKN3c106ScalarES6_lRNS1_6TensorEENKUlvE0_clEvENKUlvE4_clEvEUllE_EEvT_T0_PN15function_traitsISD_E11result_typeE, .Lfunc_end20-_ZN12_GLOBAL__N_141elementwise_kernel_with_index_grid_strideIiZZZN2at6native17linspace_cuda_outERKN3c106ScalarES6_lRNS1_6TensorEENKUlvE0_clEvENKUlvE4_clEvEUllE_EEvT_T0_PN15function_traitsISD_E11result_typeE
                                        ; -- End function
	.set _ZN12_GLOBAL__N_141elementwise_kernel_with_index_grid_strideIiZZZN2at6native17linspace_cuda_outERKN3c106ScalarES6_lRNS1_6TensorEENKUlvE0_clEvENKUlvE4_clEvEUllE_EEvT_T0_PN15function_traitsISD_E11result_typeE.num_vgpr, 25
	.set _ZN12_GLOBAL__N_141elementwise_kernel_with_index_grid_strideIiZZZN2at6native17linspace_cuda_outERKN3c106ScalarES6_lRNS1_6TensorEENKUlvE0_clEvENKUlvE4_clEvEUllE_EEvT_T0_PN15function_traitsISD_E11result_typeE.num_agpr, 0
	.set _ZN12_GLOBAL__N_141elementwise_kernel_with_index_grid_strideIiZZZN2at6native17linspace_cuda_outERKN3c106ScalarES6_lRNS1_6TensorEENKUlvE0_clEvENKUlvE4_clEvEUllE_EEvT_T0_PN15function_traitsISD_E11result_typeE.numbered_sgpr, 26
	.set _ZN12_GLOBAL__N_141elementwise_kernel_with_index_grid_strideIiZZZN2at6native17linspace_cuda_outERKN3c106ScalarES6_lRNS1_6TensorEENKUlvE0_clEvENKUlvE4_clEvEUllE_EEvT_T0_PN15function_traitsISD_E11result_typeE.num_named_barrier, 0
	.set _ZN12_GLOBAL__N_141elementwise_kernel_with_index_grid_strideIiZZZN2at6native17linspace_cuda_outERKN3c106ScalarES6_lRNS1_6TensorEENKUlvE0_clEvENKUlvE4_clEvEUllE_EEvT_T0_PN15function_traitsISD_E11result_typeE.private_seg_size, 0
	.set _ZN12_GLOBAL__N_141elementwise_kernel_with_index_grid_strideIiZZZN2at6native17linspace_cuda_outERKN3c106ScalarES6_lRNS1_6TensorEENKUlvE0_clEvENKUlvE4_clEvEUllE_EEvT_T0_PN15function_traitsISD_E11result_typeE.uses_vcc, 1
	.set _ZN12_GLOBAL__N_141elementwise_kernel_with_index_grid_strideIiZZZN2at6native17linspace_cuda_outERKN3c106ScalarES6_lRNS1_6TensorEENKUlvE0_clEvENKUlvE4_clEvEUllE_EEvT_T0_PN15function_traitsISD_E11result_typeE.uses_flat_scratch, 0
	.set _ZN12_GLOBAL__N_141elementwise_kernel_with_index_grid_strideIiZZZN2at6native17linspace_cuda_outERKN3c106ScalarES6_lRNS1_6TensorEENKUlvE0_clEvENKUlvE4_clEvEUllE_EEvT_T0_PN15function_traitsISD_E11result_typeE.has_dyn_sized_stack, 0
	.set _ZN12_GLOBAL__N_141elementwise_kernel_with_index_grid_strideIiZZZN2at6native17linspace_cuda_outERKN3c106ScalarES6_lRNS1_6TensorEENKUlvE0_clEvENKUlvE4_clEvEUllE_EEvT_T0_PN15function_traitsISD_E11result_typeE.has_recursion, 0
	.set _ZN12_GLOBAL__N_141elementwise_kernel_with_index_grid_strideIiZZZN2at6native17linspace_cuda_outERKN3c106ScalarES6_lRNS1_6TensorEENKUlvE0_clEvENKUlvE4_clEvEUllE_EEvT_T0_PN15function_traitsISD_E11result_typeE.has_indirect_call, 0
	.section	.AMDGPU.csdata,"",@progbits
; Kernel info:
; codeLenInByte = 1572
; TotalNumSgprs: 28
; NumVgprs: 25
; ScratchSize: 0
; MemoryBound: 0
; FloatMode: 240
; IeeeMode: 1
; LDSByteSize: 0 bytes/workgroup (compile time only)
; SGPRBlocks: 0
; VGPRBlocks: 3
; NumSGPRsForWavesPerEU: 28
; NumVGPRsForWavesPerEU: 25
; Occupancy: 16
; WaveLimiterHint : 0
; COMPUTE_PGM_RSRC2:SCRATCH_EN: 0
; COMPUTE_PGM_RSRC2:USER_SGPR: 6
; COMPUTE_PGM_RSRC2:TRAP_HANDLER: 0
; COMPUTE_PGM_RSRC2:TGID_X_EN: 1
; COMPUTE_PGM_RSRC2:TGID_Y_EN: 0
; COMPUTE_PGM_RSRC2:TGID_Z_EN: 0
; COMPUTE_PGM_RSRC2:TIDIG_COMP_CNT: 0
	.section	.text._ZN12_GLOBAL__N_141elementwise_kernel_with_index_grid_strideIlZZZN2at6native17linspace_cuda_outERKN3c106ScalarES6_lRNS1_6TensorEENKUlvE0_clEvENKUlvE4_clEvEUllE_EEvT_T0_PN15function_traitsISD_E11result_typeE,"axG",@progbits,_ZN12_GLOBAL__N_141elementwise_kernel_with_index_grid_strideIlZZZN2at6native17linspace_cuda_outERKN3c106ScalarES6_lRNS1_6TensorEENKUlvE0_clEvENKUlvE4_clEvEUllE_EEvT_T0_PN15function_traitsISD_E11result_typeE,comdat
	.globl	_ZN12_GLOBAL__N_141elementwise_kernel_with_index_grid_strideIlZZZN2at6native17linspace_cuda_outERKN3c106ScalarES6_lRNS1_6TensorEENKUlvE0_clEvENKUlvE4_clEvEUllE_EEvT_T0_PN15function_traitsISD_E11result_typeE ; -- Begin function _ZN12_GLOBAL__N_141elementwise_kernel_with_index_grid_strideIlZZZN2at6native17linspace_cuda_outERKN3c106ScalarES6_lRNS1_6TensorEENKUlvE0_clEvENKUlvE4_clEvEUllE_EEvT_T0_PN15function_traitsISD_E11result_typeE
	.p2align	8
	.type	_ZN12_GLOBAL__N_141elementwise_kernel_with_index_grid_strideIlZZZN2at6native17linspace_cuda_outERKN3c106ScalarES6_lRNS1_6TensorEENKUlvE0_clEvENKUlvE4_clEvEUllE_EEvT_T0_PN15function_traitsISD_E11result_typeE,@function
_ZN12_GLOBAL__N_141elementwise_kernel_with_index_grid_strideIlZZZN2at6native17linspace_cuda_outERKN3c106ScalarES6_lRNS1_6TensorEENKUlvE0_clEvENKUlvE4_clEvEUllE_EEvT_T0_PN15function_traitsISD_E11result_typeE: ; @_ZN12_GLOBAL__N_141elementwise_kernel_with_index_grid_strideIlZZZN2at6native17linspace_cuda_outERKN3c106ScalarES6_lRNS1_6TensorEENKUlvE0_clEvENKUlvE4_clEvEUllE_EEvT_T0_PN15function_traitsISD_E11result_typeE
; %bb.0:
	s_clause 0x1
	s_load_dword s2, s[4:5], 0x3c
	s_load_dwordx2 s[8:9], s[4:5], 0x0
	v_mov_b32_e32 v1, 0
	s_add_u32 s0, s4, 48
	s_addc_u32 s1, s5, 0
	s_mov_b32 s3, exec_lo
	s_waitcnt lgkmcnt(0)
	s_and_b32 s2, s2, 0xffff
	v_mad_u64_u32 v[2:3], null, s2, s6, v[0:1]
	v_cmpx_gt_i64_e64 s[8:9], v[2:3]
	s_cbranch_execz .LBB21_18
; %bb.1:
	s_load_dword s0, s[0:1], 0x0
	s_waitcnt lgkmcnt(0)
	s_add_u32 s1, s6, s0
	s_mul_hi_u32 s11, s2, s0
	v_mad_u64_u32 v[5:6], null, s1, s2, v[0:1]
	s_addc_u32 s1, 0, 0
	s_mul_i32 s10, s2, s0
	s_mov_b32 s0, exec_lo
	v_mov_b32_e32 v0, v6
	v_mad_u64_u32 v[7:8], null, s1, s2, v[0:1]
	s_load_dword s1, s[4:5], 0x8
	v_mov_b32_e32 v6, v7
	v_cmp_gt_i64_e32 vcc_lo, s[8:9], v[5:6]
	v_cndmask_b32_e64 v4, 0, 1, vcc_lo
	v_cndmask_b32_e64 v0, v7, s9, vcc_lo
	;; [unrolled: 1-line block ×3, first 2 shown]
	v_add_co_u32 v5, vcc_lo, v5, v4
	v_add_co_ci_u32_e64 v7, null, 0, v7, vcc_lo
	v_sub_co_u32 v5, vcc_lo, v6, v5
	v_sub_co_ci_u32_e64 v6, null, v0, v7, vcc_lo
	v_mov_b32_e32 v7, v1
                                        ; implicit-def: $vgpr0_vgpr1
	v_or_b32_e32 v8, s11, v6
	v_cmpx_ne_u64_e32 0, v[7:8]
	s_xor_b32 s2, exec_lo, s0
	s_cbranch_execz .LBB21_3
; %bb.2:
	v_cvt_f32_u32_e32 v0, s10
	v_cvt_f32_u32_e32 v1, s11
	s_sub_u32 s6, 0, s10
	s_subb_u32 s7, 0, s11
	v_fmamk_f32 v0, v1, 0x4f800000, v0
	v_rcp_f32_e32 v0, v0
	v_mul_f32_e32 v0, 0x5f7ffffc, v0
	v_mul_f32_e32 v1, 0x2f800000, v0
	v_trunc_f32_e32 v1, v1
	v_fmamk_f32 v0, v1, 0xcf800000, v0
	v_cvt_u32_f32_e32 v1, v1
	v_cvt_u32_f32_e32 v0, v0
	v_readfirstlane_b32 s0, v1
	v_readfirstlane_b32 s3, v0
	s_mul_i32 s12, s6, s0
	s_mul_hi_u32 s14, s6, s3
	s_mul_i32 s13, s7, s3
	s_add_i32 s12, s14, s12
	s_mul_i32 s15, s6, s3
	s_add_i32 s12, s12, s13
	s_mul_hi_u32 s14, s3, s15
	s_mul_i32 s17, s3, s12
	s_mul_hi_u32 s16, s0, s15
	s_mul_i32 s13, s0, s15
	s_mul_hi_u32 s15, s3, s12
	s_add_u32 s14, s14, s17
	s_addc_u32 s15, 0, s15
	s_mul_hi_u32 s18, s0, s12
	s_add_u32 s13, s14, s13
	s_mul_i32 s12, s0, s12
	s_addc_u32 s13, s15, s16
	s_addc_u32 s14, s18, 0
	s_add_u32 s12, s13, s12
	s_addc_u32 s13, 0, s14
	s_add_u32 s3, s3, s12
	s_cselect_b32 s12, -1, 0
	s_mul_hi_u32 s14, s6, s3
	s_cmp_lg_u32 s12, 0
	s_mul_i32 s12, s6, s3
	s_addc_u32 s0, s0, s13
	s_mul_i32 s7, s7, s3
	s_mul_i32 s6, s6, s0
	s_mul_hi_u32 s13, s3, s12
	s_add_i32 s6, s14, s6
	s_mul_hi_u32 s14, s0, s12
	s_add_i32 s6, s6, s7
	s_mul_i32 s7, s0, s12
	s_mul_i32 s16, s3, s6
	s_mul_hi_u32 s15, s3, s6
	s_add_u32 s13, s13, s16
	s_addc_u32 s15, 0, s15
	s_mul_hi_u32 s12, s0, s6
	s_add_u32 s7, s13, s7
	s_mul_i32 s6, s0, s6
	s_addc_u32 s7, s15, s14
	s_addc_u32 s12, s12, 0
	s_add_u32 s6, s7, s6
	s_addc_u32 s7, 0, s12
	s_add_u32 s3, s3, s6
	s_cselect_b32 s6, -1, 0
	v_mul_hi_u32 v11, v5, s3
	s_cmp_lg_u32 s6, 0
	v_mad_u64_u32 v[7:8], null, v6, s3, 0
	s_addc_u32 s0, s0, s7
	v_mad_u64_u32 v[0:1], null, v5, s0, 0
	v_mad_u64_u32 v[9:10], null, v6, s0, 0
	v_add_co_u32 v0, vcc_lo, v11, v0
	v_add_co_ci_u32_e64 v1, null, 0, v1, vcc_lo
	v_add_co_u32 v0, vcc_lo, v0, v7
	v_add_co_ci_u32_e32 v0, vcc_lo, v1, v8, vcc_lo
	v_add_co_ci_u32_e32 v1, vcc_lo, 0, v10, vcc_lo
	v_add_co_u32 v7, vcc_lo, v0, v9
	v_add_co_ci_u32_e64 v8, null, 0, v1, vcc_lo
	v_mul_lo_u32 v9, s11, v7
	v_mad_u64_u32 v[0:1], null, s10, v7, 0
	v_mul_lo_u32 v10, s10, v8
	v_sub_co_u32 v0, vcc_lo, v5, v0
	v_add3_u32 v1, v1, v10, v9
	v_sub_nc_u32_e32 v9, v6, v1
	v_sub_co_ci_u32_e64 v1, null, v6, v1, vcc_lo
	v_subrev_co_ci_u32_e64 v5, null, s11, v9, vcc_lo
	v_add_co_u32 v9, s0, v7, 2
	v_add_co_ci_u32_e64 v10, null, 0, v8, s0
	v_sub_co_u32 v11, s0, v0, s10
	v_subrev_co_ci_u32_e64 v5, null, 0, v5, s0
	v_cmp_eq_u32_e64 s0, s11, v1
	v_cmp_le_u32_e32 vcc_lo, s10, v11
	v_cndmask_b32_e64 v6, 0, -1, vcc_lo
	v_cmp_le_u32_e32 vcc_lo, s11, v5
	v_cndmask_b32_e64 v11, 0, -1, vcc_lo
	;; [unrolled: 2-line block ×4, first 2 shown]
	v_cmp_eq_u32_e32 vcc_lo, s11, v5
	v_cndmask_b32_e64 v0, v12, v0, s0
	v_cndmask_b32_e32 v5, v11, v6, vcc_lo
	v_add_co_u32 v6, vcc_lo, v7, 1
	v_add_co_ci_u32_e64 v11, null, 0, v8, vcc_lo
	v_cmp_ne_u32_e32 vcc_lo, 0, v5
	v_cndmask_b32_e32 v1, v11, v10, vcc_lo
	v_cndmask_b32_e32 v5, v6, v9, vcc_lo
	v_cmp_ne_u32_e32 vcc_lo, 0, v0
	v_cndmask_b32_e32 v1, v8, v1, vcc_lo
	v_cndmask_b32_e32 v0, v7, v5, vcc_lo
                                        ; implicit-def: $vgpr5
.LBB21_3:
	s_or_saveexec_b32 s2, s2
	s_clause 0x2
	s_load_dwordx2 s[12:13], s[4:5], 0x10
	s_load_dword s0, s[4:5], 0x18
	s_load_dwordx4 s[4:7], s[4:5], 0x20
	s_xor_b32 exec_lo, exec_lo, s2
	s_cbranch_execz .LBB21_5
; %bb.4:
	v_cvt_f32_u32_e32 v0, s10
	s_sub_i32 s3, 0, s10
	v_rcp_iflag_f32_e32 v0, v0
	v_mul_f32_e32 v0, 0x4f7ffffe, v0
	v_cvt_u32_f32_e32 v0, v0
	v_mul_lo_u32 v1, s3, v0
	v_mul_hi_u32 v1, v0, v1
	v_add_nc_u32_e32 v0, v0, v1
	v_mul_hi_u32 v0, v5, v0
	v_mul_lo_u32 v1, v0, s10
	v_sub_nc_u32_e32 v1, v5, v1
	v_add_nc_u32_e32 v5, 1, v0
	v_subrev_nc_u32_e32 v6, s10, v1
	v_cmp_le_u32_e32 vcc_lo, s10, v1
	v_cndmask_b32_e32 v1, v1, v6, vcc_lo
	v_cndmask_b32_e32 v0, v0, v5, vcc_lo
	v_cmp_le_u32_e32 vcc_lo, s10, v1
	v_add_nc_u32_e32 v5, 1, v0
	v_mov_b32_e32 v1, 0
	v_cndmask_b32_e32 v0, v0, v5, vcc_lo
.LBB21_5:
	s_or_b32 exec_lo, exec_lo, s2
	v_add_co_u32 v0, vcc_lo, v0, v4
	v_add_co_ci_u32_e64 v1, null, 0, v1, vcc_lo
	s_waitcnt lgkmcnt(0)
	s_lshl_b32 s3, s0, 16
	v_add_co_u32 v0, vcc_lo, v0, 1
	v_add_co_ci_u32_e64 v1, null, 0, v1, vcc_lo
	s_mov_b32 s0, 0
	s_pack_lh_b32_b16 s22, 0, s1
	s_lshl_b32 s23, s1, 16
                                        ; implicit-def: $vgpr4_vgpr5
	s_mov_b32 s1, exec_lo
	v_cmpx_lt_u64_e32 1, v[0:1]
	s_xor_b32 s24, exec_lo, s1
	s_cbranch_execnz .LBB21_8
; %bb.6:
	s_andn2_saveexec_b32 s1, s24
	s_cbranch_execnz .LBB21_11
.LBB21_7:
	s_or_b32 exec_lo, exec_lo, s1
	s_and_b32 exec_lo, exec_lo, s0
	s_cbranch_execnz .LBB21_12
	s_branch .LBB21_18
.LBB21_8:
	v_lshlrev_b64 v[6:7], 1, v[2:3]
	v_add_co_u32 v4, vcc_lo, v2, s10
	v_mov_b32_e32 v9, v1
	v_add_co_ci_u32_e64 v5, null, s11, v3, vcc_lo
	v_and_b32_e32 v8, -2, v0
	v_add_co_u32 v10, vcc_lo, s6, v6
	v_add_co_ci_u32_e64 v11, null, s7, v7, vcc_lo
	v_mov_b32_e32 v13, v9
	v_mov_b32_e32 v7, v5
	;; [unrolled: 1-line block ×7, first 2 shown]
	s_lshl_b64 s[18:19], s[10:11], 1
	s_mov_b32 s25, s3
	s_mov_b32 s26, s22
	;; [unrolled: 1-line block ×11, first 2 shown]
	s_lshl_b64 s[20:21], s[10:11], 2
	s_mov_b32 s33, 0
.LBB21_9:                               ; =>This Inner Loop Header: Depth=1
	v_not_b32_e32 v17, v4
	v_add_co_u32 v15, vcc_lo, v10, s18
	v_not_b32_e32 v18, v5
	v_add_co_ci_u32_e64 v16, null, s19, v11, vcc_lo
	v_add_co_u32 v12, vcc_lo, v12, -2
	v_not_b32_e32 v19, v6
	v_add_co_ci_u32_e64 v13, null, -1, v13, vcc_lo
	v_add_co_u32 v17, vcc_lo, s12, v17
	v_not_b32_e32 v20, v7
	v_ffbh_u32_e32 v21, v5
	v_ffbh_u32_e32 v22, v7
	v_add_co_ci_u32_e64 v18, null, s13, v18, vcc_lo
	v_add_co_u32 v19, vcc_lo, s28, v19
	v_add_co_ci_u32_e64 v20, null, s29, v20, vcc_lo
	v_min_u32_e32 v23, 32, v21
	v_min_u32_e32 v25, 32, v22
	v_xor_b32_e32 v26, v17, v18
	v_xor_b32_e32 v28, v19, v20
	v_ffbh_i32_e32 v27, v18
	v_lshlrev_b64 v[21:22], v23, v[4:5]
	v_sub_nc_u32_e32 v30, 32, v23
	v_lshlrev_b64 v[23:24], v25, v[6:7]
	v_ashrrev_i32_e32 v26, 31, v26
	v_ffbh_i32_e32 v29, v20
	v_ashrrev_i32_e32 v28, 31, v28
	v_add_nc_u32_e32 v27, -1, v27
	v_min_u32_e32 v21, 1, v21
	v_min_u32_e32 v23, 1, v23
	v_add_nc_u32_e32 v26, 32, v26
	v_add_nc_u32_e32 v29, -1, v29
	v_add_nc_u32_e32 v28, 32, v28
	v_or_b32_e32 v21, v22, v21
	v_or_b32_e32 v22, v24, v23
	v_min_u32_e32 v23, v27, v26
	v_sub_nc_u32_e32 v25, 32, v25
	v_min_u32_e32 v24, v29, v28
	v_cvt_f32_u32_e32 v21, v21
	v_cvt_f32_u32_e32 v22, v22
	v_lshlrev_b64 v[17:18], v23, v[17:18]
	v_sub_nc_u32_e32 v23, 32, v23
	v_lshlrev_b64 v[19:20], v24, v[19:20]
	v_ldexp_f32 v21, v21, v30
	v_ldexp_f32 v22, v22, v25
	v_sub_nc_u32_e32 v24, 32, v24
	v_min_u32_e32 v17, 1, v17
	v_cmp_eq_u64_e32 vcc_lo, 0, v[12:13]
	v_min_u32_e32 v19, 1, v19
	v_and_b32_sdwa v26, v21, v14 dst_sel:DWORD dst_unused:UNUSED_PAD src0_sel:WORD_1 src1_sel:DWORD
	v_and_b32_sdwa v25, v22, v14 dst_sel:DWORD dst_unused:UNUSED_PAD src0_sel:WORD_1 src1_sel:DWORD
	v_or_b32_e32 v17, v18, v17
	v_or_b32_e32 v19, v20, v19
	v_add3_u32 v20, v21, v26, 0x7fff
	v_add3_u32 v18, v22, v25, 0x7fff
	v_cvt_f32_i32_e32 v17, v17
	s_or_b32 s33, vcc_lo, s33
	v_cvt_f32_i32_e32 v19, v19
	v_and_b32_e32 v20, 0xffff0000, v20
	v_and_b32_e32 v18, 0xffff0000, v18
	v_ldexp_f32 v17, v17, v23
	v_ldexp_f32 v19, v19, v24
	v_mul_f32_e32 v20, s3, v20
	v_mul_f32_e32 v18, s25, v18
	v_and_b32_sdwa v22, v17, v14 dst_sel:DWORD dst_unused:UNUSED_PAD src0_sel:WORD_1 src1_sel:DWORD
	v_and_b32_sdwa v21, v19, v14 dst_sel:DWORD dst_unused:UNUSED_PAD src0_sel:WORD_1 src1_sel:DWORD
	v_and_b32_sdwa v24, v20, v14 dst_sel:DWORD dst_unused:UNUSED_PAD src0_sel:WORD_1 src1_sel:DWORD
	v_and_b32_sdwa v23, v18, v14 dst_sel:DWORD dst_unused:UNUSED_PAD src0_sel:WORD_1 src1_sel:DWORD
	v_add3_u32 v17, v17, v22, 0x7fff
	v_cmp_o_f32_e64 s0, v20, v20
	v_add3_u32 v19, v19, v21, 0x7fff
	v_add3_u32 v22, v20, v24, 0x7fff
	v_add3_u32 v21, v18, v23, 0x7fff
	v_and_b32_e32 v17, 0xffff0000, v17
	v_cmp_o_f32_e64 s1, v18, v18
	v_and_b32_e32 v19, 0xffff0000, v19
	v_and_b32_e32 v22, 0xffff0000, v22
	;; [unrolled: 1-line block ×3, first 2 shown]
	v_mul_f32_e32 v17, s3, v17
	v_mul_f32_e32 v18, s25, v19
	v_cndmask_b32_e64 v20, 0x7fc00000, v22, s0
	v_cndmask_b32_e64 v19, 0x7fc00000, v21, s1
	v_and_b32_sdwa v22, v17, v14 dst_sel:DWORD dst_unused:UNUSED_PAD src0_sel:WORD_1 src1_sel:DWORD
	v_cmp_o_f32_e64 s0, v17, v17
	v_and_b32_sdwa v21, v18, v14 dst_sel:DWORD dst_unused:UNUSED_PAD src0_sel:WORD_1 src1_sel:DWORD
	v_cmp_o_f32_e64 s1, v18, v18
	v_add_f32_e32 v20, s23, v20
	v_add3_u32 v22, v17, v22, 0x7fff
	v_add_f32_e32 v19, s27, v19
	v_add3_u32 v21, v18, v21, 0x7fff
	v_and_b32_e32 v22, 0xffff0000, v22
	v_and_b32_e32 v21, 0xffff0000, v21
	v_cndmask_b32_e64 v18, 0x7fc00000, v22, s0
	v_cmp_gt_i64_e64 s0, s[16:17], v[6:7]
	v_cndmask_b32_e64 v17, 0x7fc00000, v21, s1
	v_cmp_gt_i64_e64 s1, s[14:15], v[4:5]
	v_add_co_u32 v6, s2, v6, s30
	v_sub_f32_e32 v18, s22, v18
	v_sub_f32_e32 v17, s26, v17
	v_add_co_ci_u32_e64 v7, null, s31, v7, s2
	v_add_co_u32 v4, s2, v4, s18
	v_cndmask_b32_e64 v18, v18, v20, s1
	v_cndmask_b32_e64 v17, v17, v19, s0
	v_add_co_ci_u32_e64 v5, null, s19, v5, s2
	v_and_b32_sdwa v19, v18, v14 dst_sel:DWORD dst_unused:UNUSED_PAD src0_sel:WORD_1 src1_sel:DWORD
	v_and_b32_sdwa v20, v17, v14 dst_sel:DWORD dst_unused:UNUSED_PAD src0_sel:WORD_1 src1_sel:DWORD
	v_cmp_o_f32_e64 s1, v18, v18
	v_cmp_o_f32_e64 s0, v17, v17
	v_add3_u32 v19, v18, v19, 0x7fff
	v_add3_u32 v20, v17, v20, 0x7fff
	v_lshrrev_b32_e32 v19, 16, v19
	v_lshrrev_b32_e32 v20, 16, v20
	v_cndmask_b32_e64 v17, 0x7fc0, v19, s1
	v_cndmask_b32_e64 v18, 0x7fc0, v20, s0
	global_store_short v[10:11], v17, off
	v_add_co_u32 v10, s0, v10, s20
	v_add_co_ci_u32_e64 v11, null, s21, v11, s0
	global_store_short v[15:16], v18, off
	s_andn2_b32 exec_lo, exec_lo, s33
	s_cbranch_execnz .LBB21_9
; %bb.10:
	s_or_b32 exec_lo, exec_lo, s33
	v_mad_u64_u32 v[2:3], null, v8, s10, v[2:3]
	v_mul_lo_u32 v4, v8, s11
	v_mul_lo_u32 v5, v9, s10
	v_cmp_ne_u64_e32 vcc_lo, v[0:1], v[8:9]
	s_and_b32 s0, vcc_lo, exec_lo
	v_add3_u32 v3, v5, v3, v4
	v_mov_b32_e32 v4, s18
	v_mov_b32_e32 v5, s19
	s_andn2_saveexec_b32 s1, s24
	s_cbranch_execz .LBB21_7
.LBB21_11:
	s_lshl_b64 s[14:15], s[10:11], 1
	s_or_b32 s0, s0, exec_lo
	v_mov_b32_e32 v4, s14
	v_mov_b32_e32 v5, s15
	s_or_b32 exec_lo, exec_lo, s1
	s_and_b32 exec_lo, exec_lo, s0
	s_cbranch_execz .LBB21_18
.LBB21_12:
	v_not_b32_e32 v0, v2
	v_lshlrev_b64 v[6:7], 1, v[2:3]
	v_not_b32_e32 v1, v3
	v_mov_b32_e32 v8, 0x7fc0
	s_mov_b32 s1, 0
	v_add_co_u32 v0, vcc_lo, v0, s12
	v_add_co_ci_u32_e64 v1, null, s13, v1, vcc_lo
	v_add_co_u32 v6, vcc_lo, s6, v6
	v_add_co_ci_u32_e64 v7, null, s7, v7, vcc_lo
	s_branch .LBB21_14
.LBB21_13:                              ;   in Loop: Header=BB21_14 Depth=1
	s_or_b32 exec_lo, exec_lo, s0
	v_bfe_u32 v10, v9, 16, 1
	v_cmp_o_f32_e32 vcc_lo, v9, v9
	v_add_co_u32 v2, s0, v2, s10
	v_add_co_ci_u32_e64 v3, null, s11, v3, s0
	v_add3_u32 v9, v9, v10, 0x7fff
	v_cndmask_b32_sdwa v9, v8, v9, vcc_lo dst_sel:DWORD dst_unused:UNUSED_PAD src0_sel:DWORD src1_sel:WORD_1
	v_sub_co_u32 v0, vcc_lo, v0, s10
	v_subrev_co_ci_u32_e64 v1, null, s11, v1, vcc_lo
	v_cmp_le_i64_e32 vcc_lo, s[8:9], v[2:3]
	global_store_short v[6:7], v9, off
	v_add_co_u32 v6, s0, v6, v4
	v_add_co_ci_u32_e64 v7, null, v7, v5, s0
	s_or_b32 s1, vcc_lo, s1
	s_andn2_b32 exec_lo, exec_lo, s1
	s_cbranch_execz .LBB21_18
.LBB21_14:                              ; =>This Inner Loop Header: Depth=1
	s_mov_b32 s0, exec_lo
                                        ; implicit-def: $vgpr9
	v_cmpx_le_i64_e64 s[4:5], v[2:3]
	s_xor_b32 s0, exec_lo, s0
	s_cbranch_execz .LBB21_16
; %bb.15:                               ;   in Loop: Header=BB21_14 Depth=1
	v_xor_b32_e32 v9, v0, v1
	v_ffbh_i32_e32 v10, v1
	v_ashrrev_i32_e32 v9, 31, v9
	v_add_nc_u32_e32 v10, -1, v10
	v_add_nc_u32_e32 v9, 32, v9
	v_min_u32_e32 v11, v10, v9
	v_lshlrev_b64 v[9:10], v11, v[0:1]
	v_min_u32_e32 v9, 1, v9
	v_or_b32_e32 v9, v10, v9
	v_sub_nc_u32_e32 v10, 32, v11
	v_cvt_f32_i32_e32 v9, v9
	v_ldexp_f32 v9, v9, v10
	v_bfe_u32 v10, v9, 16, 1
	v_add3_u32 v9, v9, v10, 0x7fff
	v_and_b32_e32 v9, 0xffff0000, v9
	v_mul_f32_e32 v9, s3, v9
	v_bfe_u32 v10, v9, 16, 1
	v_cmp_o_f32_e32 vcc_lo, v9, v9
	v_add3_u32 v10, v9, v10, 0x7fff
	v_and_b32_e32 v10, 0xffff0000, v10
	v_cndmask_b32_e32 v9, 0x7fc00000, v10, vcc_lo
	v_sub_f32_e32 v9, s22, v9
.LBB21_16:                              ;   in Loop: Header=BB21_14 Depth=1
	s_andn2_saveexec_b32 s0, s0
	s_cbranch_execz .LBB21_13
; %bb.17:                               ;   in Loop: Header=BB21_14 Depth=1
	v_ffbh_u32_e32 v9, v3
	v_min_u32_e32 v11, 32, v9
	v_lshlrev_b64 v[9:10], v11, v[2:3]
	v_min_u32_e32 v9, 1, v9
	v_or_b32_e32 v9, v10, v9
	v_sub_nc_u32_e32 v10, 32, v11
	v_cvt_f32_u32_e32 v9, v9
	v_ldexp_f32 v9, v9, v10
	v_bfe_u32 v10, v9, 16, 1
	v_add3_u32 v9, v9, v10, 0x7fff
	v_and_b32_e32 v9, 0xffff0000, v9
	v_mul_f32_e32 v9, s3, v9
	v_bfe_u32 v10, v9, 16, 1
	v_cmp_o_f32_e32 vcc_lo, v9, v9
	v_add3_u32 v10, v9, v10, 0x7fff
	v_and_b32_e32 v10, 0xffff0000, v10
	v_cndmask_b32_e32 v9, 0x7fc00000, v10, vcc_lo
	v_add_f32_e32 v9, s23, v9
	s_branch .LBB21_13
.LBB21_18:
	s_endpgm
	.section	.rodata,"a",@progbits
	.p2align	6, 0x0
	.amdhsa_kernel _ZN12_GLOBAL__N_141elementwise_kernel_with_index_grid_strideIlZZZN2at6native17linspace_cuda_outERKN3c106ScalarES6_lRNS1_6TensorEENKUlvE0_clEvENKUlvE4_clEvEUllE_EEvT_T0_PN15function_traitsISD_E11result_typeE
		.amdhsa_group_segment_fixed_size 0
		.amdhsa_private_segment_fixed_size 0
		.amdhsa_kernarg_size 304
		.amdhsa_user_sgpr_count 6
		.amdhsa_user_sgpr_private_segment_buffer 1
		.amdhsa_user_sgpr_dispatch_ptr 0
		.amdhsa_user_sgpr_queue_ptr 0
		.amdhsa_user_sgpr_kernarg_segment_ptr 1
		.amdhsa_user_sgpr_dispatch_id 0
		.amdhsa_user_sgpr_flat_scratch_init 0
		.amdhsa_user_sgpr_private_segment_size 0
		.amdhsa_wavefront_size32 1
		.amdhsa_uses_dynamic_stack 0
		.amdhsa_system_sgpr_private_segment_wavefront_offset 0
		.amdhsa_system_sgpr_workgroup_id_x 1
		.amdhsa_system_sgpr_workgroup_id_y 0
		.amdhsa_system_sgpr_workgroup_id_z 0
		.amdhsa_system_sgpr_workgroup_info 0
		.amdhsa_system_vgpr_workitem_id 0
		.amdhsa_next_free_vgpr 31
		.amdhsa_next_free_sgpr 34
		.amdhsa_reserve_vcc 1
		.amdhsa_reserve_flat_scratch 0
		.amdhsa_float_round_mode_32 0
		.amdhsa_float_round_mode_16_64 0
		.amdhsa_float_denorm_mode_32 3
		.amdhsa_float_denorm_mode_16_64 3
		.amdhsa_dx10_clamp 1
		.amdhsa_ieee_mode 1
		.amdhsa_fp16_overflow 0
		.amdhsa_workgroup_processor_mode 1
		.amdhsa_memory_ordered 1
		.amdhsa_forward_progress 1
		.amdhsa_shared_vgpr_count 0
		.amdhsa_exception_fp_ieee_invalid_op 0
		.amdhsa_exception_fp_denorm_src 0
		.amdhsa_exception_fp_ieee_div_zero 0
		.amdhsa_exception_fp_ieee_overflow 0
		.amdhsa_exception_fp_ieee_underflow 0
		.amdhsa_exception_fp_ieee_inexact 0
		.amdhsa_exception_int_div_zero 0
	.end_amdhsa_kernel
	.section	.text._ZN12_GLOBAL__N_141elementwise_kernel_with_index_grid_strideIlZZZN2at6native17linspace_cuda_outERKN3c106ScalarES6_lRNS1_6TensorEENKUlvE0_clEvENKUlvE4_clEvEUllE_EEvT_T0_PN15function_traitsISD_E11result_typeE,"axG",@progbits,_ZN12_GLOBAL__N_141elementwise_kernel_with_index_grid_strideIlZZZN2at6native17linspace_cuda_outERKN3c106ScalarES6_lRNS1_6TensorEENKUlvE0_clEvENKUlvE4_clEvEUllE_EEvT_T0_PN15function_traitsISD_E11result_typeE,comdat
.Lfunc_end21:
	.size	_ZN12_GLOBAL__N_141elementwise_kernel_with_index_grid_strideIlZZZN2at6native17linspace_cuda_outERKN3c106ScalarES6_lRNS1_6TensorEENKUlvE0_clEvENKUlvE4_clEvEUllE_EEvT_T0_PN15function_traitsISD_E11result_typeE, .Lfunc_end21-_ZN12_GLOBAL__N_141elementwise_kernel_with_index_grid_strideIlZZZN2at6native17linspace_cuda_outERKN3c106ScalarES6_lRNS1_6TensorEENKUlvE0_clEvENKUlvE4_clEvEUllE_EEvT_T0_PN15function_traitsISD_E11result_typeE
                                        ; -- End function
	.set _ZN12_GLOBAL__N_141elementwise_kernel_with_index_grid_strideIlZZZN2at6native17linspace_cuda_outERKN3c106ScalarES6_lRNS1_6TensorEENKUlvE0_clEvENKUlvE4_clEvEUllE_EEvT_T0_PN15function_traitsISD_E11result_typeE.num_vgpr, 31
	.set _ZN12_GLOBAL__N_141elementwise_kernel_with_index_grid_strideIlZZZN2at6native17linspace_cuda_outERKN3c106ScalarES6_lRNS1_6TensorEENKUlvE0_clEvENKUlvE4_clEvEUllE_EEvT_T0_PN15function_traitsISD_E11result_typeE.num_agpr, 0
	.set _ZN12_GLOBAL__N_141elementwise_kernel_with_index_grid_strideIlZZZN2at6native17linspace_cuda_outERKN3c106ScalarES6_lRNS1_6TensorEENKUlvE0_clEvENKUlvE4_clEvEUllE_EEvT_T0_PN15function_traitsISD_E11result_typeE.numbered_sgpr, 34
	.set _ZN12_GLOBAL__N_141elementwise_kernel_with_index_grid_strideIlZZZN2at6native17linspace_cuda_outERKN3c106ScalarES6_lRNS1_6TensorEENKUlvE0_clEvENKUlvE4_clEvEUllE_EEvT_T0_PN15function_traitsISD_E11result_typeE.num_named_barrier, 0
	.set _ZN12_GLOBAL__N_141elementwise_kernel_with_index_grid_strideIlZZZN2at6native17linspace_cuda_outERKN3c106ScalarES6_lRNS1_6TensorEENKUlvE0_clEvENKUlvE4_clEvEUllE_EEvT_T0_PN15function_traitsISD_E11result_typeE.private_seg_size, 0
	.set _ZN12_GLOBAL__N_141elementwise_kernel_with_index_grid_strideIlZZZN2at6native17linspace_cuda_outERKN3c106ScalarES6_lRNS1_6TensorEENKUlvE0_clEvENKUlvE4_clEvEUllE_EEvT_T0_PN15function_traitsISD_E11result_typeE.uses_vcc, 1
	.set _ZN12_GLOBAL__N_141elementwise_kernel_with_index_grid_strideIlZZZN2at6native17linspace_cuda_outERKN3c106ScalarES6_lRNS1_6TensorEENKUlvE0_clEvENKUlvE4_clEvEUllE_EEvT_T0_PN15function_traitsISD_E11result_typeE.uses_flat_scratch, 0
	.set _ZN12_GLOBAL__N_141elementwise_kernel_with_index_grid_strideIlZZZN2at6native17linspace_cuda_outERKN3c106ScalarES6_lRNS1_6TensorEENKUlvE0_clEvENKUlvE4_clEvEUllE_EEvT_T0_PN15function_traitsISD_E11result_typeE.has_dyn_sized_stack, 0
	.set _ZN12_GLOBAL__N_141elementwise_kernel_with_index_grid_strideIlZZZN2at6native17linspace_cuda_outERKN3c106ScalarES6_lRNS1_6TensorEENKUlvE0_clEvENKUlvE4_clEvEUllE_EEvT_T0_PN15function_traitsISD_E11result_typeE.has_recursion, 0
	.set _ZN12_GLOBAL__N_141elementwise_kernel_with_index_grid_strideIlZZZN2at6native17linspace_cuda_outERKN3c106ScalarES6_lRNS1_6TensorEENKUlvE0_clEvENKUlvE4_clEvEUllE_EEvT_T0_PN15function_traitsISD_E11result_typeE.has_indirect_call, 0
	.section	.AMDGPU.csdata,"",@progbits
; Kernel info:
; codeLenInByte = 2480
; TotalNumSgprs: 36
; NumVgprs: 31
; ScratchSize: 0
; MemoryBound: 0
; FloatMode: 240
; IeeeMode: 1
; LDSByteSize: 0 bytes/workgroup (compile time only)
; SGPRBlocks: 0
; VGPRBlocks: 3
; NumSGPRsForWavesPerEU: 36
; NumVGPRsForWavesPerEU: 31
; Occupancy: 16
; WaveLimiterHint : 0
; COMPUTE_PGM_RSRC2:SCRATCH_EN: 0
; COMPUTE_PGM_RSRC2:USER_SGPR: 6
; COMPUTE_PGM_RSRC2:TRAP_HANDLER: 0
; COMPUTE_PGM_RSRC2:TGID_X_EN: 1
; COMPUTE_PGM_RSRC2:TGID_Y_EN: 0
; COMPUTE_PGM_RSRC2:TGID_Z_EN: 0
; COMPUTE_PGM_RSRC2:TIDIG_COMP_CNT: 0
	.section	.text._ZN12_GLOBAL__N_141elementwise_kernel_with_index_grid_strideIiZZZN2at6native17logspace_cuda_outERKN3c106ScalarES6_ldRNS1_6TensorEENKUlvE_clEvENKUlvE_clEvEUllE_EEvT_T0_PN15function_traitsISD_E11result_typeE,"axG",@progbits,_ZN12_GLOBAL__N_141elementwise_kernel_with_index_grid_strideIiZZZN2at6native17logspace_cuda_outERKN3c106ScalarES6_ldRNS1_6TensorEENKUlvE_clEvENKUlvE_clEvEUllE_EEvT_T0_PN15function_traitsISD_E11result_typeE,comdat
	.globl	_ZN12_GLOBAL__N_141elementwise_kernel_with_index_grid_strideIiZZZN2at6native17logspace_cuda_outERKN3c106ScalarES6_ldRNS1_6TensorEENKUlvE_clEvENKUlvE_clEvEUllE_EEvT_T0_PN15function_traitsISD_E11result_typeE ; -- Begin function _ZN12_GLOBAL__N_141elementwise_kernel_with_index_grid_strideIiZZZN2at6native17logspace_cuda_outERKN3c106ScalarES6_ldRNS1_6TensorEENKUlvE_clEvENKUlvE_clEvEUllE_EEvT_T0_PN15function_traitsISD_E11result_typeE
	.p2align	8
	.type	_ZN12_GLOBAL__N_141elementwise_kernel_with_index_grid_strideIiZZZN2at6native17logspace_cuda_outERKN3c106ScalarES6_ldRNS1_6TensorEENKUlvE_clEvENKUlvE_clEvEUllE_EEvT_T0_PN15function_traitsISD_E11result_typeE,@function
_ZN12_GLOBAL__N_141elementwise_kernel_with_index_grid_strideIiZZZN2at6native17logspace_cuda_outERKN3c106ScalarES6_ldRNS1_6TensorEENKUlvE_clEvENKUlvE_clEvEUllE_EEvT_T0_PN15function_traitsISD_E11result_typeE: ; @_ZN12_GLOBAL__N_141elementwise_kernel_with_index_grid_strideIiZZZN2at6native17logspace_cuda_outERKN3c106ScalarES6_ldRNS1_6TensorEENKUlvE_clEvENKUlvE_clEvEUllE_EEvT_T0_PN15function_traitsISD_E11result_typeE
; %bb.0:
	s_clause 0x1
	s_load_dword s2, s[4:5], 0x3c
	s_load_dword s3, s[4:5], 0x0
	s_add_u32 s0, s4, 48
	s_addc_u32 s1, s5, 0
	s_waitcnt lgkmcnt(0)
	s_and_b32 s2, s2, 0xffff
	v_mad_u64_u32 v[0:1], null, s6, s2, v[0:1]
	s_mov_b32 s6, exec_lo
	v_cmpx_gt_i32_e64 s3, v0
	s_cbranch_execz .LBB22_7
; %bb.1:
	s_load_dword s0, s[0:1], 0x0
	s_clause 0x2
	s_load_dwordx4 s[8:11], s[4:5], 0x8
	s_load_dword s12, s[4:5], 0x18
	s_load_dwordx4 s[4:7], s[4:5], 0x20
	v_ashrrev_i32_e32 v1, 31, v0
	v_not_b32_e32 v2, v0
	s_mov_b32 s14, 0x3e76c4e1
	v_not_b32_e32 v3, v1
	s_waitcnt lgkmcnt(0)
	s_mul_i32 s13, s0, s2
	v_add_co_u32 v2, vcc_lo, v2, s10
	v_cvt_f32_ubyte1_e32 v4, s8
	v_cvt_f32_ubyte0_e32 v5, s8
	v_cmp_eq_f32_e64 s8, s9, 1.0
	v_add_co_ci_u32_e64 v3, null, s11, v3, vcc_lo
	s_ashr_i32 s10, s13, 31
	s_mov_b32 s11, 0
	s_branch .LBB22_3
.LBB22_2:                               ;   in Loop: Header=BB22_3 Depth=1
	s_or_b32 exec_lo, exec_lo, s0
	v_cndmask_b32_e64 v8, v6, 1.0, s8
	v_cmp_neq_f32_e32 vcc_lo, 0, v8
	v_cmp_neq_f32_e64 s15, v8, |v8|
	v_cndmask_b32_e64 v9, 1.0, s9, vcc_lo
	v_frexp_mant_f32_e64 v6, |v9|
	v_cmp_lt_f32_e64 s16, |v9|, 1.0
	v_cmp_eq_f32_e64 s2, 0, v9
	v_cmp_gt_f32_e32 vcc_lo, 0x3f2aaaab, v6
	s_xor_b32 s15, s15, s16
	v_cndmask_b32_e64 v7, 1.0, 2.0, vcc_lo
	v_mul_f32_e32 v6, v6, v7
	v_add_f32_e32 v7, 1.0, v6
	v_add_f32_e32 v11, -1.0, v6
	v_rcp_f32_e32 v10, v7
	v_add_f32_e32 v13, -1.0, v7
	v_sub_f32_e32 v6, v6, v13
	v_mul_f32_e32 v12, v11, v10
	v_mul_f32_e32 v14, v7, v12
	v_fma_f32 v7, v12, v7, -v14
	v_fmac_f32_e32 v7, v12, v6
	v_add_f32_e32 v6, v14, v7
	v_sub_f32_e32 v13, v11, v6
	v_sub_f32_e32 v14, v6, v14
	v_sub_f32_e32 v11, v11, v13
	v_sub_f32_e32 v7, v14, v7
	v_sub_f32_e32 v6, v11, v6
	v_add_f32_e32 v6, v7, v6
	v_add_f32_e32 v6, v13, v6
	v_mul_f32_e32 v6, v10, v6
	v_add_f32_e32 v10, v12, v6
	v_sub_f32_e32 v7, v10, v12
	v_mul_f32_e32 v11, v10, v10
	v_sub_f32_e32 v12, v6, v7
	v_fma_f32 v6, v10, v10, -v11
	v_add_f32_e32 v7, v12, v12
	v_fmac_f32_e32 v6, v10, v7
	v_add_f32_e32 v13, v11, v6
	v_fmaak_f32 v7, s14, v13, 0x3e91f4c4
	v_sub_f32_e32 v11, v13, v11
	v_mul_f32_e32 v18, v10, v13
	v_fmaak_f32 v7, v13, v7, 0x3ecccdef
	v_sub_f32_e32 v11, v6, v11
	v_fma_f32 v19, v13, v10, -v18
	v_mul_f32_e32 v14, v13, v7
	v_fmac_f32_e32 v19, v13, v12
	v_ldexp_f32 v12, v12, 1
	v_fma_f32 v15, v13, v7, -v14
	v_fmac_f32_e32 v19, v11, v10
	v_fmac_f32_e32 v15, v11, v7
	v_cvt_f64_f32_e64 v[6:7], |v9|
	v_add_f32_e32 v16, v14, v15
	v_sub_f32_e32 v14, v16, v14
	v_add_f32_e32 v17, 0x3f2aaaaa, v16
	v_sub_f32_e32 v14, v15, v14
	v_add_f32_e32 v15, 0xbf2aaaaa, v17
	v_add_f32_e32 v14, 0x31739010, v14
	v_sub_f32_e32 v15, v16, v15
	v_frexp_exp_i32_f64_e32 v6, v[6:7]
	v_add_f32_e32 v13, v14, v15
	v_add_f32_e32 v14, v18, v19
	;; [unrolled: 1-line block ×3, first 2 shown]
	v_sub_f32_e32 v16, v14, v18
	v_sub_f32_e32 v7, v17, v11
	v_mul_f32_e32 v15, v14, v11
	v_sub_f32_e32 v16, v19, v16
	v_add_f32_e32 v7, v13, v7
	v_fma_f32 v13, v14, v11, -v15
	v_subrev_co_ci_u32_e64 v6, null, 0, v6, vcc_lo
	v_fmac_f32_e32 v13, v14, v7
	v_ldexp_f32 v7, v10, 1
	v_cvt_f32_i32_e32 v6, v6
	v_fmac_f32_e32 v13, v16, v11
	v_add_f32_e32 v10, v15, v13
	v_add_f32_e32 v11, v7, v10
	v_sub_f32_e32 v14, v10, v15
	v_mul_f32_e32 v15, 0x3f317218, v6
	v_sub_f32_e32 v7, v11, v7
	v_sub_f32_e32 v13, v13, v14
	v_fma_f32 v14, 0x3f317218, v6, -v15
	v_sub_f32_e32 v7, v10, v7
	v_add_f32_e32 v10, v12, v13
	v_fmac_f32_e32 v14, 0xb102e308, v6
	v_add_f32_e32 v6, v10, v7
	v_add_f32_e32 v7, v15, v14
	;; [unrolled: 1-line block ×3, first 2 shown]
	v_sub_f32_e32 v15, v7, v15
	v_add_f32_e32 v12, v7, v10
	v_sub_f32_e32 v11, v10, v11
	v_sub_f32_e32 v14, v14, v15
	;; [unrolled: 1-line block ×6, first 2 shown]
	v_add_f32_e32 v11, v14, v6
	v_sub_f32_e32 v7, v7, v16
	v_add_f32_e32 v7, v10, v7
	v_sub_f32_e32 v10, v11, v14
	;; [unrolled: 2-line block ×3, first 2 shown]
	v_sub_f32_e32 v6, v6, v10
	v_add_f32_e32 v13, v12, v7
	v_sub_f32_e32 v10, v14, v11
	v_sub_f32_e32 v11, v13, v12
	v_add_f32_e32 v6, v6, v10
	v_sub_f32_e32 v7, v7, v11
	v_add_f32_e32 v6, v6, v7
	v_add_f32_e32 v7, v13, v6
	v_sub_f32_e32 v10, v7, v13
	v_mul_f32_e32 v11, v8, v7
	v_sub_f32_e32 v6, v6, v10
	v_fma_f32 v7, v8, v7, -v11
	v_cmp_class_f32_e64 vcc_lo, v11, 0x204
	v_fmac_f32_e32 v7, v8, v6
	v_add_f32_e32 v6, v11, v7
	v_cndmask_b32_e32 v10, v6, v11, vcc_lo
	v_sub_f32_e32 v6, v6, v11
	v_cmp_eq_f32_e32 vcc_lo, 0x42b17218, v10
	v_sub_f32_e32 v6, v7, v6
	v_cndmask_b32_e64 v12, 0, 0x37000000, vcc_lo
	v_cmp_neq_f32_e64 vcc_lo, 0x7f800000, |v10|
	v_sub_f32_e32 v13, v10, v12
	v_cndmask_b32_e32 v6, 0, v6, vcc_lo
	v_trunc_f32_e32 v10, v8
	v_mul_f32_e32 v14, 0x3fb8aa3b, v13
	v_cmp_ngt_f32_e32 vcc_lo, 0xc2ce8ed0, v13
	v_add_f32_e32 v6, v12, v6
	v_fma_f32 v15, 0x3fb8aa3b, v13, -v14
	v_rndne_f32_e32 v16, v14
	v_fmac_f32_e32 v15, 0x32a5705f, v13
	v_sub_f32_e32 v14, v14, v16
	v_cvt_i32_f32_e32 v11, v16
	v_add_f32_e32 v14, v14, v15
	v_exp_f32_e32 v14, v14
	v_ldexp_f32 v7, v14, v11
	v_mul_f32_e32 v11, 0.5, v8
	v_cndmask_b32_e32 v7, 0, v7, vcc_lo
	v_cmp_nlt_f32_e32 vcc_lo, 0x42b17218, v13
	v_trunc_f32_e32 v14, v11
	v_cndmask_b32_e32 v7, 0x7f800000, v7, vcc_lo
	v_cmp_eq_f32_e32 vcc_lo, v10, v8
	v_cmp_neq_f32_e64 s0, v14, v11
	v_fma_f32 v6, v7, v6, v7
	v_cmp_class_f32_e64 s1, v7, 0x204
	s_and_b32 s0, vcc_lo, s0
	v_cndmask_b32_e64 v10, 1.0, v9, s0
	v_cndmask_b32_e64 v12, 0, v9, s0
	v_cndmask_b32_e64 v6, v6, v7, s1
	;; [unrolled: 1-line block ×3, first 2 shown]
	v_cmp_gt_f32_e64 s1, 0, v8
	v_cmp_class_f32_e64 s0, v9, 0x204
	v_bfi_b32 v6, 0x7fffffff, v6, v10
	s_xor_b32 s1, s1, s2
	v_cndmask_b32_e64 v10, 0x7f800000, 0, s1
	v_cndmask_b32_e32 v11, 0x7fc00000, v6, vcc_lo
	v_cmp_neq_f32_e64 vcc_lo, |v9|, 1.0
	v_cmp_o_f32_e64 s1, v9, v8
	v_bfi_b32 v10, 0x7fffffff, v10, v12
	v_cndmask_b32_e32 v7, 1.0, v7, vcc_lo
	v_cmp_gt_f32_e32 vcc_lo, 0, v9
	v_cndmask_b32_e32 v6, v6, v11, vcc_lo
	v_cmp_class_f32_e64 vcc_lo, v8, 0x204
	v_cndmask_b32_e32 v6, v6, v7, vcc_lo
	s_or_b32 vcc_lo, s2, s0
	v_cndmask_b32_e32 v7, v6, v10, vcc_lo
	v_add_co_u32 v6, vcc_lo, s6, v0
	v_add_co_u32 v0, s0, v0, s13
	v_cndmask_b32_e64 v8, 0x7fc00000, v7, s1
	v_add_co_ci_u32_e64 v7, null, s7, v1, vcc_lo
	v_add_co_ci_u32_e64 v1, null, s10, v1, s0
	v_cmp_le_i32_e32 vcc_lo, s3, v0
	v_sub_co_u32 v2, s0, v2, s13
	v_cvt_i32_f32_e32 v8, v8
	v_subrev_co_ci_u32_e64 v3, null, s10, v3, s0
	s_or_b32 s11, vcc_lo, s11
	global_store_byte v[6:7], v8, off
	s_andn2_b32 exec_lo, exec_lo, s11
	s_cbranch_execz .LBB22_7
.LBB22_3:                               ; =>This Inner Loop Header: Depth=1
	s_mov_b32 s0, exec_lo
                                        ; implicit-def: $vgpr6
	v_cmpx_le_i64_e64 s[4:5], v[0:1]
	s_xor_b32 s0, exec_lo, s0
	s_cbranch_execz .LBB22_5
; %bb.4:                                ;   in Loop: Header=BB22_3 Depth=1
	v_xor_b32_e32 v6, v2, v3
	v_ffbh_i32_e32 v7, v3
	v_ashrrev_i32_e32 v6, 31, v6
	v_add_nc_u32_e32 v7, -1, v7
	v_add_nc_u32_e32 v6, 32, v6
	v_min_u32_e32 v8, v7, v6
	v_lshlrev_b64 v[6:7], v8, v[2:3]
	v_min_u32_e32 v6, 1, v6
	v_or_b32_e32 v6, v7, v6
	v_sub_nc_u32_e32 v7, 32, v8
	v_cvt_f32_i32_e32 v6, v6
	v_ldexp_f32 v6, v6, v7
	v_fma_f32 v6, -s12, v6, v4
.LBB22_5:                               ;   in Loop: Header=BB22_3 Depth=1
	s_andn2_saveexec_b32 s0, s0
	s_cbranch_execz .LBB22_2
; %bb.6:                                ;   in Loop: Header=BB22_3 Depth=1
	v_cvt_f32_i32_e32 v6, v0
	v_fma_f32 v6, s12, v6, v5
	s_branch .LBB22_2
.LBB22_7:
	s_endpgm
	.section	.rodata,"a",@progbits
	.p2align	6, 0x0
	.amdhsa_kernel _ZN12_GLOBAL__N_141elementwise_kernel_with_index_grid_strideIiZZZN2at6native17logspace_cuda_outERKN3c106ScalarES6_ldRNS1_6TensorEENKUlvE_clEvENKUlvE_clEvEUllE_EEvT_T0_PN15function_traitsISD_E11result_typeE
		.amdhsa_group_segment_fixed_size 0
		.amdhsa_private_segment_fixed_size 0
		.amdhsa_kernarg_size 304
		.amdhsa_user_sgpr_count 6
		.amdhsa_user_sgpr_private_segment_buffer 1
		.amdhsa_user_sgpr_dispatch_ptr 0
		.amdhsa_user_sgpr_queue_ptr 0
		.amdhsa_user_sgpr_kernarg_segment_ptr 1
		.amdhsa_user_sgpr_dispatch_id 0
		.amdhsa_user_sgpr_flat_scratch_init 0
		.amdhsa_user_sgpr_private_segment_size 0
		.amdhsa_wavefront_size32 1
		.amdhsa_uses_dynamic_stack 0
		.amdhsa_system_sgpr_private_segment_wavefront_offset 0
		.amdhsa_system_sgpr_workgroup_id_x 1
		.amdhsa_system_sgpr_workgroup_id_y 0
		.amdhsa_system_sgpr_workgroup_id_z 0
		.amdhsa_system_sgpr_workgroup_info 0
		.amdhsa_system_vgpr_workitem_id 0
		.amdhsa_next_free_vgpr 20
		.amdhsa_next_free_sgpr 17
		.amdhsa_reserve_vcc 1
		.amdhsa_reserve_flat_scratch 0
		.amdhsa_float_round_mode_32 0
		.amdhsa_float_round_mode_16_64 0
		.amdhsa_float_denorm_mode_32 3
		.amdhsa_float_denorm_mode_16_64 3
		.amdhsa_dx10_clamp 1
		.amdhsa_ieee_mode 1
		.amdhsa_fp16_overflow 0
		.amdhsa_workgroup_processor_mode 1
		.amdhsa_memory_ordered 1
		.amdhsa_forward_progress 1
		.amdhsa_shared_vgpr_count 0
		.amdhsa_exception_fp_ieee_invalid_op 0
		.amdhsa_exception_fp_denorm_src 0
		.amdhsa_exception_fp_ieee_div_zero 0
		.amdhsa_exception_fp_ieee_overflow 0
		.amdhsa_exception_fp_ieee_underflow 0
		.amdhsa_exception_fp_ieee_inexact 0
		.amdhsa_exception_int_div_zero 0
	.end_amdhsa_kernel
	.section	.text._ZN12_GLOBAL__N_141elementwise_kernel_with_index_grid_strideIiZZZN2at6native17logspace_cuda_outERKN3c106ScalarES6_ldRNS1_6TensorEENKUlvE_clEvENKUlvE_clEvEUllE_EEvT_T0_PN15function_traitsISD_E11result_typeE,"axG",@progbits,_ZN12_GLOBAL__N_141elementwise_kernel_with_index_grid_strideIiZZZN2at6native17logspace_cuda_outERKN3c106ScalarES6_ldRNS1_6TensorEENKUlvE_clEvENKUlvE_clEvEUllE_EEvT_T0_PN15function_traitsISD_E11result_typeE,comdat
.Lfunc_end22:
	.size	_ZN12_GLOBAL__N_141elementwise_kernel_with_index_grid_strideIiZZZN2at6native17logspace_cuda_outERKN3c106ScalarES6_ldRNS1_6TensorEENKUlvE_clEvENKUlvE_clEvEUllE_EEvT_T0_PN15function_traitsISD_E11result_typeE, .Lfunc_end22-_ZN12_GLOBAL__N_141elementwise_kernel_with_index_grid_strideIiZZZN2at6native17logspace_cuda_outERKN3c106ScalarES6_ldRNS1_6TensorEENKUlvE_clEvENKUlvE_clEvEUllE_EEvT_T0_PN15function_traitsISD_E11result_typeE
                                        ; -- End function
	.set _ZN12_GLOBAL__N_141elementwise_kernel_with_index_grid_strideIiZZZN2at6native17logspace_cuda_outERKN3c106ScalarES6_ldRNS1_6TensorEENKUlvE_clEvENKUlvE_clEvEUllE_EEvT_T0_PN15function_traitsISD_E11result_typeE.num_vgpr, 20
	.set _ZN12_GLOBAL__N_141elementwise_kernel_with_index_grid_strideIiZZZN2at6native17logspace_cuda_outERKN3c106ScalarES6_ldRNS1_6TensorEENKUlvE_clEvENKUlvE_clEvEUllE_EEvT_T0_PN15function_traitsISD_E11result_typeE.num_agpr, 0
	.set _ZN12_GLOBAL__N_141elementwise_kernel_with_index_grid_strideIiZZZN2at6native17logspace_cuda_outERKN3c106ScalarES6_ldRNS1_6TensorEENKUlvE_clEvENKUlvE_clEvEUllE_EEvT_T0_PN15function_traitsISD_E11result_typeE.numbered_sgpr, 17
	.set _ZN12_GLOBAL__N_141elementwise_kernel_with_index_grid_strideIiZZZN2at6native17logspace_cuda_outERKN3c106ScalarES6_ldRNS1_6TensorEENKUlvE_clEvENKUlvE_clEvEUllE_EEvT_T0_PN15function_traitsISD_E11result_typeE.num_named_barrier, 0
	.set _ZN12_GLOBAL__N_141elementwise_kernel_with_index_grid_strideIiZZZN2at6native17logspace_cuda_outERKN3c106ScalarES6_ldRNS1_6TensorEENKUlvE_clEvENKUlvE_clEvEUllE_EEvT_T0_PN15function_traitsISD_E11result_typeE.private_seg_size, 0
	.set _ZN12_GLOBAL__N_141elementwise_kernel_with_index_grid_strideIiZZZN2at6native17logspace_cuda_outERKN3c106ScalarES6_ldRNS1_6TensorEENKUlvE_clEvENKUlvE_clEvEUllE_EEvT_T0_PN15function_traitsISD_E11result_typeE.uses_vcc, 1
	.set _ZN12_GLOBAL__N_141elementwise_kernel_with_index_grid_strideIiZZZN2at6native17logspace_cuda_outERKN3c106ScalarES6_ldRNS1_6TensorEENKUlvE_clEvENKUlvE_clEvEUllE_EEvT_T0_PN15function_traitsISD_E11result_typeE.uses_flat_scratch, 0
	.set _ZN12_GLOBAL__N_141elementwise_kernel_with_index_grid_strideIiZZZN2at6native17logspace_cuda_outERKN3c106ScalarES6_ldRNS1_6TensorEENKUlvE_clEvENKUlvE_clEvEUllE_EEvT_T0_PN15function_traitsISD_E11result_typeE.has_dyn_sized_stack, 0
	.set _ZN12_GLOBAL__N_141elementwise_kernel_with_index_grid_strideIiZZZN2at6native17logspace_cuda_outERKN3c106ScalarES6_ldRNS1_6TensorEENKUlvE_clEvENKUlvE_clEvEUllE_EEvT_T0_PN15function_traitsISD_E11result_typeE.has_recursion, 0
	.set _ZN12_GLOBAL__N_141elementwise_kernel_with_index_grid_strideIiZZZN2at6native17logspace_cuda_outERKN3c106ScalarES6_ldRNS1_6TensorEENKUlvE_clEvENKUlvE_clEvEUllE_EEvT_T0_PN15function_traitsISD_E11result_typeE.has_indirect_call, 0
	.section	.AMDGPU.csdata,"",@progbits
; Kernel info:
; codeLenInByte = 1292
; TotalNumSgprs: 19
; NumVgprs: 20
; ScratchSize: 0
; MemoryBound: 0
; FloatMode: 240
; IeeeMode: 1
; LDSByteSize: 0 bytes/workgroup (compile time only)
; SGPRBlocks: 0
; VGPRBlocks: 2
; NumSGPRsForWavesPerEU: 19
; NumVGPRsForWavesPerEU: 20
; Occupancy: 16
; WaveLimiterHint : 0
; COMPUTE_PGM_RSRC2:SCRATCH_EN: 0
; COMPUTE_PGM_RSRC2:USER_SGPR: 6
; COMPUTE_PGM_RSRC2:TRAP_HANDLER: 0
; COMPUTE_PGM_RSRC2:TGID_X_EN: 1
; COMPUTE_PGM_RSRC2:TGID_Y_EN: 0
; COMPUTE_PGM_RSRC2:TGID_Z_EN: 0
; COMPUTE_PGM_RSRC2:TIDIG_COMP_CNT: 0
	.section	.text._ZN12_GLOBAL__N_141elementwise_kernel_with_index_grid_strideIlZZZN2at6native17logspace_cuda_outERKN3c106ScalarES6_ldRNS1_6TensorEENKUlvE_clEvENKUlvE_clEvEUllE_EEvT_T0_PN15function_traitsISD_E11result_typeE,"axG",@progbits,_ZN12_GLOBAL__N_141elementwise_kernel_with_index_grid_strideIlZZZN2at6native17logspace_cuda_outERKN3c106ScalarES6_ldRNS1_6TensorEENKUlvE_clEvENKUlvE_clEvEUllE_EEvT_T0_PN15function_traitsISD_E11result_typeE,comdat
	.globl	_ZN12_GLOBAL__N_141elementwise_kernel_with_index_grid_strideIlZZZN2at6native17logspace_cuda_outERKN3c106ScalarES6_ldRNS1_6TensorEENKUlvE_clEvENKUlvE_clEvEUllE_EEvT_T0_PN15function_traitsISD_E11result_typeE ; -- Begin function _ZN12_GLOBAL__N_141elementwise_kernel_with_index_grid_strideIlZZZN2at6native17logspace_cuda_outERKN3c106ScalarES6_ldRNS1_6TensorEENKUlvE_clEvENKUlvE_clEvEUllE_EEvT_T0_PN15function_traitsISD_E11result_typeE
	.p2align	8
	.type	_ZN12_GLOBAL__N_141elementwise_kernel_with_index_grid_strideIlZZZN2at6native17logspace_cuda_outERKN3c106ScalarES6_ldRNS1_6TensorEENKUlvE_clEvENKUlvE_clEvEUllE_EEvT_T0_PN15function_traitsISD_E11result_typeE,@function
_ZN12_GLOBAL__N_141elementwise_kernel_with_index_grid_strideIlZZZN2at6native17logspace_cuda_outERKN3c106ScalarES6_ldRNS1_6TensorEENKUlvE_clEvENKUlvE_clEvEUllE_EEvT_T0_PN15function_traitsISD_E11result_typeE: ; @_ZN12_GLOBAL__N_141elementwise_kernel_with_index_grid_strideIlZZZN2at6native17logspace_cuda_outERKN3c106ScalarES6_ldRNS1_6TensorEENKUlvE_clEvENKUlvE_clEvEUllE_EEvT_T0_PN15function_traitsISD_E11result_typeE
; %bb.0:
	s_clause 0x1
	s_load_dword s2, s[4:5], 0x3c
	s_load_dwordx2 s[12:13], s[4:5], 0x0
	v_mov_b32_e32 v1, 0
	s_add_u32 s0, s4, 48
	s_addc_u32 s1, s5, 0
	s_mov_b32 s3, exec_lo
	s_waitcnt lgkmcnt(0)
	s_and_b32 s2, s2, 0xffff
	v_mad_u64_u32 v[0:1], null, s2, s6, v[0:1]
	v_cmpx_gt_i64_e64 s[12:13], v[0:1]
	s_cbranch_execz .LBB23_7
; %bb.1:
	s_load_dwordx4 s[8:11], s[4:5], 0x8
	s_load_dword s0, s[0:1], 0x0
	s_clause 0x1
	s_load_dword s3, s[4:5], 0x18
	s_load_dwordx4 s[4:7], s[4:5], 0x20
	v_not_b32_e32 v2, v0
	v_not_b32_e32 v3, v1
	s_mov_b32 s14, 0
	s_mov_b32 s15, 0x3e76c4e1
	s_waitcnt lgkmcnt(0)
	v_add_co_u32 v2, vcc_lo, v2, s10
	v_cvt_f32_ubyte1_e32 v4, s8
	v_cvt_f32_ubyte0_e32 v5, s8
	v_cmp_eq_f32_e64 s8, s9, 1.0
	v_add_co_ci_u32_e64 v3, null, s11, v3, vcc_lo
	s_mul_hi_u32 s10, s2, s0
	s_mul_i32 s11, s2, s0
	s_branch .LBB23_3
.LBB23_2:                               ;   in Loop: Header=BB23_3 Depth=1
	s_or_b32 exec_lo, exec_lo, s0
	v_cndmask_b32_e64 v8, v6, 1.0, s8
	v_cmp_neq_f32_e32 vcc_lo, 0, v8
	v_cmp_neq_f32_e64 s16, v8, |v8|
	v_cndmask_b32_e64 v9, 1.0, s9, vcc_lo
	v_frexp_mant_f32_e64 v6, |v9|
	v_cmp_lt_f32_e64 s17, |v9|, 1.0
	v_cmp_eq_f32_e64 s2, 0, v9
	v_cmp_gt_f32_e32 vcc_lo, 0x3f2aaaab, v6
	s_xor_b32 s16, s16, s17
	v_cndmask_b32_e64 v7, 1.0, 2.0, vcc_lo
	v_mul_f32_e32 v6, v6, v7
	v_add_f32_e32 v7, 1.0, v6
	v_add_f32_e32 v11, -1.0, v6
	v_rcp_f32_e32 v10, v7
	v_add_f32_e32 v13, -1.0, v7
	v_sub_f32_e32 v6, v6, v13
	v_mul_f32_e32 v12, v11, v10
	v_mul_f32_e32 v14, v7, v12
	v_fma_f32 v7, v12, v7, -v14
	v_fmac_f32_e32 v7, v12, v6
	v_add_f32_e32 v6, v14, v7
	v_sub_f32_e32 v13, v11, v6
	v_sub_f32_e32 v14, v6, v14
	;; [unrolled: 1-line block ×5, first 2 shown]
	v_add_f32_e32 v6, v7, v6
	v_add_f32_e32 v6, v13, v6
	v_mul_f32_e32 v6, v10, v6
	v_add_f32_e32 v10, v12, v6
	v_sub_f32_e32 v7, v10, v12
	v_mul_f32_e32 v11, v10, v10
	v_sub_f32_e32 v12, v6, v7
	v_fma_f32 v6, v10, v10, -v11
	v_add_f32_e32 v7, v12, v12
	v_fmac_f32_e32 v6, v10, v7
	v_add_f32_e32 v13, v11, v6
	v_fmaak_f32 v7, s15, v13, 0x3e91f4c4
	v_sub_f32_e32 v11, v13, v11
	v_mul_f32_e32 v18, v10, v13
	v_fmaak_f32 v7, v13, v7, 0x3ecccdef
	v_sub_f32_e32 v11, v6, v11
	v_fma_f32 v19, v13, v10, -v18
	v_mul_f32_e32 v14, v13, v7
	v_fmac_f32_e32 v19, v13, v12
	v_ldexp_f32 v12, v12, 1
	v_fma_f32 v15, v13, v7, -v14
	v_fmac_f32_e32 v19, v11, v10
	v_fmac_f32_e32 v15, v11, v7
	v_cvt_f64_f32_e64 v[6:7], |v9|
	v_add_f32_e32 v16, v14, v15
	v_sub_f32_e32 v14, v16, v14
	v_add_f32_e32 v17, 0x3f2aaaaa, v16
	v_sub_f32_e32 v14, v15, v14
	v_add_f32_e32 v15, 0xbf2aaaaa, v17
	v_add_f32_e32 v14, 0x31739010, v14
	v_sub_f32_e32 v15, v16, v15
	v_frexp_exp_i32_f64_e32 v6, v[6:7]
	v_add_f32_e32 v13, v14, v15
	v_add_f32_e32 v14, v18, v19
	;; [unrolled: 1-line block ×3, first 2 shown]
	v_sub_f32_e32 v16, v14, v18
	v_sub_f32_e32 v7, v17, v11
	v_mul_f32_e32 v15, v14, v11
	v_sub_f32_e32 v16, v19, v16
	v_add_f32_e32 v7, v13, v7
	v_fma_f32 v13, v14, v11, -v15
	v_subrev_co_ci_u32_e64 v6, null, 0, v6, vcc_lo
	v_fmac_f32_e32 v13, v14, v7
	v_ldexp_f32 v7, v10, 1
	v_cvt_f32_i32_e32 v6, v6
	v_fmac_f32_e32 v13, v16, v11
	v_add_f32_e32 v10, v15, v13
	v_add_f32_e32 v11, v7, v10
	v_sub_f32_e32 v14, v10, v15
	v_mul_f32_e32 v15, 0x3f317218, v6
	v_sub_f32_e32 v7, v11, v7
	v_sub_f32_e32 v13, v13, v14
	v_fma_f32 v14, 0x3f317218, v6, -v15
	v_sub_f32_e32 v7, v10, v7
	v_add_f32_e32 v10, v12, v13
	v_fmac_f32_e32 v14, 0xb102e308, v6
	v_add_f32_e32 v6, v10, v7
	v_add_f32_e32 v7, v15, v14
	;; [unrolled: 1-line block ×3, first 2 shown]
	v_sub_f32_e32 v15, v7, v15
	v_add_f32_e32 v12, v7, v10
	v_sub_f32_e32 v11, v10, v11
	v_sub_f32_e32 v14, v14, v15
	;; [unrolled: 1-line block ×6, first 2 shown]
	v_add_f32_e32 v11, v14, v6
	v_sub_f32_e32 v7, v7, v16
	v_add_f32_e32 v7, v10, v7
	v_sub_f32_e32 v10, v11, v14
	;; [unrolled: 2-line block ×3, first 2 shown]
	v_sub_f32_e32 v6, v6, v10
	v_add_f32_e32 v13, v12, v7
	v_sub_f32_e32 v10, v14, v11
	v_sub_f32_e32 v11, v13, v12
	v_add_f32_e32 v6, v6, v10
	v_sub_f32_e32 v7, v7, v11
	v_add_f32_e32 v6, v6, v7
	v_add_f32_e32 v7, v13, v6
	v_sub_f32_e32 v10, v7, v13
	v_mul_f32_e32 v11, v8, v7
	v_sub_f32_e32 v6, v6, v10
	v_fma_f32 v7, v8, v7, -v11
	v_cmp_class_f32_e64 vcc_lo, v11, 0x204
	v_fmac_f32_e32 v7, v8, v6
	v_add_f32_e32 v6, v11, v7
	v_cndmask_b32_e32 v10, v6, v11, vcc_lo
	v_sub_f32_e32 v6, v6, v11
	v_cmp_eq_f32_e32 vcc_lo, 0x42b17218, v10
	v_sub_f32_e32 v6, v7, v6
	v_cndmask_b32_e64 v12, 0, 0x37000000, vcc_lo
	v_cmp_neq_f32_e64 vcc_lo, 0x7f800000, |v10|
	v_sub_f32_e32 v13, v10, v12
	v_cndmask_b32_e32 v6, 0, v6, vcc_lo
	v_trunc_f32_e32 v10, v8
	v_mul_f32_e32 v14, 0x3fb8aa3b, v13
	v_cmp_ngt_f32_e32 vcc_lo, 0xc2ce8ed0, v13
	v_add_f32_e32 v6, v12, v6
	v_fma_f32 v15, 0x3fb8aa3b, v13, -v14
	v_rndne_f32_e32 v16, v14
	v_fmac_f32_e32 v15, 0x32a5705f, v13
	v_sub_f32_e32 v14, v14, v16
	v_cvt_i32_f32_e32 v11, v16
	v_add_f32_e32 v14, v14, v15
	v_exp_f32_e32 v14, v14
	v_ldexp_f32 v7, v14, v11
	v_mul_f32_e32 v11, 0.5, v8
	v_cndmask_b32_e32 v7, 0, v7, vcc_lo
	v_cmp_nlt_f32_e32 vcc_lo, 0x42b17218, v13
	v_trunc_f32_e32 v14, v11
	v_cndmask_b32_e32 v7, 0x7f800000, v7, vcc_lo
	v_cmp_eq_f32_e32 vcc_lo, v10, v8
	v_cmp_neq_f32_e64 s0, v14, v11
	v_fma_f32 v6, v7, v6, v7
	v_cmp_class_f32_e64 s1, v7, 0x204
	s_and_b32 s0, vcc_lo, s0
	v_cndmask_b32_e64 v10, 1.0, v9, s0
	v_cndmask_b32_e64 v12, 0, v9, s0
	v_cndmask_b32_e64 v6, v6, v7, s1
	;; [unrolled: 1-line block ×3, first 2 shown]
	v_cmp_gt_f32_e64 s1, 0, v8
	v_cmp_class_f32_e64 s0, v9, 0x204
	v_bfi_b32 v6, 0x7fffffff, v6, v10
	s_xor_b32 s1, s1, s2
	v_cndmask_b32_e64 v10, 0x7f800000, 0, s1
	v_cndmask_b32_e32 v11, 0x7fc00000, v6, vcc_lo
	v_cmp_neq_f32_e64 vcc_lo, |v9|, 1.0
	v_bfi_b32 v10, 0x7fffffff, v10, v12
	v_cndmask_b32_e32 v7, 1.0, v7, vcc_lo
	v_cmp_gt_f32_e32 vcc_lo, 0, v9
	v_cndmask_b32_e32 v6, v6, v11, vcc_lo
	v_cmp_class_f32_e64 vcc_lo, v8, 0x204
	v_cndmask_b32_e32 v11, v6, v7, vcc_lo
	v_add_co_u32 v6, vcc_lo, s6, v0
	v_add_co_ci_u32_e64 v7, null, s7, v1, vcc_lo
	s_or_b32 vcc_lo, s2, s0
	v_sub_co_u32 v2, s0, v2, s11
	v_cndmask_b32_e32 v10, v11, v10, vcc_lo
	v_add_co_u32 v0, vcc_lo, v0, s11
	v_add_co_ci_u32_e64 v1, null, s10, v1, vcc_lo
	v_cmp_o_f32_e32 vcc_lo, v9, v8
	v_subrev_co_ci_u32_e64 v3, null, s10, v3, s0
	v_cndmask_b32_e32 v8, 0x7fc00000, v10, vcc_lo
	v_cmp_le_i64_e32 vcc_lo, s[12:13], v[0:1]
	v_cvt_i32_f32_e32 v8, v8
	s_or_b32 s14, vcc_lo, s14
	global_store_byte v[6:7], v8, off
	s_andn2_b32 exec_lo, exec_lo, s14
	s_cbranch_execz .LBB23_7
.LBB23_3:                               ; =>This Inner Loop Header: Depth=1
	s_mov_b32 s0, exec_lo
                                        ; implicit-def: $vgpr6
	v_cmpx_le_i64_e64 s[4:5], v[0:1]
	s_xor_b32 s0, exec_lo, s0
	s_cbranch_execz .LBB23_5
; %bb.4:                                ;   in Loop: Header=BB23_3 Depth=1
	v_xor_b32_e32 v6, v2, v3
	v_ffbh_i32_e32 v7, v3
	v_ashrrev_i32_e32 v6, 31, v6
	v_add_nc_u32_e32 v7, -1, v7
	v_add_nc_u32_e32 v6, 32, v6
	v_min_u32_e32 v8, v7, v6
	v_lshlrev_b64 v[6:7], v8, v[2:3]
	v_min_u32_e32 v6, 1, v6
	v_or_b32_e32 v6, v7, v6
	v_sub_nc_u32_e32 v7, 32, v8
	v_cvt_f32_i32_e32 v6, v6
	v_ldexp_f32 v6, v6, v7
	v_fma_f32 v6, -s3, v6, v4
.LBB23_5:                               ;   in Loop: Header=BB23_3 Depth=1
	s_andn2_saveexec_b32 s0, s0
	s_cbranch_execz .LBB23_2
; %bb.6:                                ;   in Loop: Header=BB23_3 Depth=1
	v_ffbh_u32_e32 v6, v1
	v_min_u32_e32 v8, 32, v6
	v_lshlrev_b64 v[6:7], v8, v[0:1]
	v_min_u32_e32 v6, 1, v6
	v_or_b32_e32 v6, v7, v6
	v_sub_nc_u32_e32 v7, 32, v8
	v_cvt_f32_u32_e32 v6, v6
	v_ldexp_f32 v6, v6, v7
	v_fma_f32 v6, s3, v6, v5
	s_branch .LBB23_2
.LBB23_7:
	s_endpgm
	.section	.rodata,"a",@progbits
	.p2align	6, 0x0
	.amdhsa_kernel _ZN12_GLOBAL__N_141elementwise_kernel_with_index_grid_strideIlZZZN2at6native17logspace_cuda_outERKN3c106ScalarES6_ldRNS1_6TensorEENKUlvE_clEvENKUlvE_clEvEUllE_EEvT_T0_PN15function_traitsISD_E11result_typeE
		.amdhsa_group_segment_fixed_size 0
		.amdhsa_private_segment_fixed_size 0
		.amdhsa_kernarg_size 304
		.amdhsa_user_sgpr_count 6
		.amdhsa_user_sgpr_private_segment_buffer 1
		.amdhsa_user_sgpr_dispatch_ptr 0
		.amdhsa_user_sgpr_queue_ptr 0
		.amdhsa_user_sgpr_kernarg_segment_ptr 1
		.amdhsa_user_sgpr_dispatch_id 0
		.amdhsa_user_sgpr_flat_scratch_init 0
		.amdhsa_user_sgpr_private_segment_size 0
		.amdhsa_wavefront_size32 1
		.amdhsa_uses_dynamic_stack 0
		.amdhsa_system_sgpr_private_segment_wavefront_offset 0
		.amdhsa_system_sgpr_workgroup_id_x 1
		.amdhsa_system_sgpr_workgroup_id_y 0
		.amdhsa_system_sgpr_workgroup_id_z 0
		.amdhsa_system_sgpr_workgroup_info 0
		.amdhsa_system_vgpr_workitem_id 0
		.amdhsa_next_free_vgpr 20
		.amdhsa_next_free_sgpr 18
		.amdhsa_reserve_vcc 1
		.amdhsa_reserve_flat_scratch 0
		.amdhsa_float_round_mode_32 0
		.amdhsa_float_round_mode_16_64 0
		.amdhsa_float_denorm_mode_32 3
		.amdhsa_float_denorm_mode_16_64 3
		.amdhsa_dx10_clamp 1
		.amdhsa_ieee_mode 1
		.amdhsa_fp16_overflow 0
		.amdhsa_workgroup_processor_mode 1
		.amdhsa_memory_ordered 1
		.amdhsa_forward_progress 1
		.amdhsa_shared_vgpr_count 0
		.amdhsa_exception_fp_ieee_invalid_op 0
		.amdhsa_exception_fp_denorm_src 0
		.amdhsa_exception_fp_ieee_div_zero 0
		.amdhsa_exception_fp_ieee_overflow 0
		.amdhsa_exception_fp_ieee_underflow 0
		.amdhsa_exception_fp_ieee_inexact 0
		.amdhsa_exception_int_div_zero 0
	.end_amdhsa_kernel
	.section	.text._ZN12_GLOBAL__N_141elementwise_kernel_with_index_grid_strideIlZZZN2at6native17logspace_cuda_outERKN3c106ScalarES6_ldRNS1_6TensorEENKUlvE_clEvENKUlvE_clEvEUllE_EEvT_T0_PN15function_traitsISD_E11result_typeE,"axG",@progbits,_ZN12_GLOBAL__N_141elementwise_kernel_with_index_grid_strideIlZZZN2at6native17logspace_cuda_outERKN3c106ScalarES6_ldRNS1_6TensorEENKUlvE_clEvENKUlvE_clEvEUllE_EEvT_T0_PN15function_traitsISD_E11result_typeE,comdat
.Lfunc_end23:
	.size	_ZN12_GLOBAL__N_141elementwise_kernel_with_index_grid_strideIlZZZN2at6native17logspace_cuda_outERKN3c106ScalarES6_ldRNS1_6TensorEENKUlvE_clEvENKUlvE_clEvEUllE_EEvT_T0_PN15function_traitsISD_E11result_typeE, .Lfunc_end23-_ZN12_GLOBAL__N_141elementwise_kernel_with_index_grid_strideIlZZZN2at6native17logspace_cuda_outERKN3c106ScalarES6_ldRNS1_6TensorEENKUlvE_clEvENKUlvE_clEvEUllE_EEvT_T0_PN15function_traitsISD_E11result_typeE
                                        ; -- End function
	.set _ZN12_GLOBAL__N_141elementwise_kernel_with_index_grid_strideIlZZZN2at6native17logspace_cuda_outERKN3c106ScalarES6_ldRNS1_6TensorEENKUlvE_clEvENKUlvE_clEvEUllE_EEvT_T0_PN15function_traitsISD_E11result_typeE.num_vgpr, 20
	.set _ZN12_GLOBAL__N_141elementwise_kernel_with_index_grid_strideIlZZZN2at6native17logspace_cuda_outERKN3c106ScalarES6_ldRNS1_6TensorEENKUlvE_clEvENKUlvE_clEvEUllE_EEvT_T0_PN15function_traitsISD_E11result_typeE.num_agpr, 0
	.set _ZN12_GLOBAL__N_141elementwise_kernel_with_index_grid_strideIlZZZN2at6native17logspace_cuda_outERKN3c106ScalarES6_ldRNS1_6TensorEENKUlvE_clEvENKUlvE_clEvEUllE_EEvT_T0_PN15function_traitsISD_E11result_typeE.numbered_sgpr, 18
	.set _ZN12_GLOBAL__N_141elementwise_kernel_with_index_grid_strideIlZZZN2at6native17logspace_cuda_outERKN3c106ScalarES6_ldRNS1_6TensorEENKUlvE_clEvENKUlvE_clEvEUllE_EEvT_T0_PN15function_traitsISD_E11result_typeE.num_named_barrier, 0
	.set _ZN12_GLOBAL__N_141elementwise_kernel_with_index_grid_strideIlZZZN2at6native17logspace_cuda_outERKN3c106ScalarES6_ldRNS1_6TensorEENKUlvE_clEvENKUlvE_clEvEUllE_EEvT_T0_PN15function_traitsISD_E11result_typeE.private_seg_size, 0
	.set _ZN12_GLOBAL__N_141elementwise_kernel_with_index_grid_strideIlZZZN2at6native17logspace_cuda_outERKN3c106ScalarES6_ldRNS1_6TensorEENKUlvE_clEvENKUlvE_clEvEUllE_EEvT_T0_PN15function_traitsISD_E11result_typeE.uses_vcc, 1
	.set _ZN12_GLOBAL__N_141elementwise_kernel_with_index_grid_strideIlZZZN2at6native17logspace_cuda_outERKN3c106ScalarES6_ldRNS1_6TensorEENKUlvE_clEvENKUlvE_clEvEUllE_EEvT_T0_PN15function_traitsISD_E11result_typeE.uses_flat_scratch, 0
	.set _ZN12_GLOBAL__N_141elementwise_kernel_with_index_grid_strideIlZZZN2at6native17logspace_cuda_outERKN3c106ScalarES6_ldRNS1_6TensorEENKUlvE_clEvENKUlvE_clEvEUllE_EEvT_T0_PN15function_traitsISD_E11result_typeE.has_dyn_sized_stack, 0
	.set _ZN12_GLOBAL__N_141elementwise_kernel_with_index_grid_strideIlZZZN2at6native17logspace_cuda_outERKN3c106ScalarES6_ldRNS1_6TensorEENKUlvE_clEvENKUlvE_clEvEUllE_EEvT_T0_PN15function_traitsISD_E11result_typeE.has_recursion, 0
	.set _ZN12_GLOBAL__N_141elementwise_kernel_with_index_grid_strideIlZZZN2at6native17logspace_cuda_outERKN3c106ScalarES6_ldRNS1_6TensorEENKUlvE_clEvENKUlvE_clEvEUllE_EEvT_T0_PN15function_traitsISD_E11result_typeE.has_indirect_call, 0
	.section	.AMDGPU.csdata,"",@progbits
; Kernel info:
; codeLenInByte = 1320
; TotalNumSgprs: 20
; NumVgprs: 20
; ScratchSize: 0
; MemoryBound: 0
; FloatMode: 240
; IeeeMode: 1
; LDSByteSize: 0 bytes/workgroup (compile time only)
; SGPRBlocks: 0
; VGPRBlocks: 2
; NumSGPRsForWavesPerEU: 20
; NumVGPRsForWavesPerEU: 20
; Occupancy: 16
; WaveLimiterHint : 0
; COMPUTE_PGM_RSRC2:SCRATCH_EN: 0
; COMPUTE_PGM_RSRC2:USER_SGPR: 6
; COMPUTE_PGM_RSRC2:TRAP_HANDLER: 0
; COMPUTE_PGM_RSRC2:TGID_X_EN: 1
; COMPUTE_PGM_RSRC2:TGID_Y_EN: 0
; COMPUTE_PGM_RSRC2:TGID_Z_EN: 0
; COMPUTE_PGM_RSRC2:TIDIG_COMP_CNT: 0
	.section	.text._ZN12_GLOBAL__N_141elementwise_kernel_with_index_grid_strideIiZZZN2at6native17logspace_cuda_outERKN3c106ScalarES6_ldRNS1_6TensorEENKUlvE_clEvENKUlvE0_clEvEUllE_EEvT_T0_PN15function_traitsISD_E11result_typeE,"axG",@progbits,_ZN12_GLOBAL__N_141elementwise_kernel_with_index_grid_strideIiZZZN2at6native17logspace_cuda_outERKN3c106ScalarES6_ldRNS1_6TensorEENKUlvE_clEvENKUlvE0_clEvEUllE_EEvT_T0_PN15function_traitsISD_E11result_typeE,comdat
	.globl	_ZN12_GLOBAL__N_141elementwise_kernel_with_index_grid_strideIiZZZN2at6native17logspace_cuda_outERKN3c106ScalarES6_ldRNS1_6TensorEENKUlvE_clEvENKUlvE0_clEvEUllE_EEvT_T0_PN15function_traitsISD_E11result_typeE ; -- Begin function _ZN12_GLOBAL__N_141elementwise_kernel_with_index_grid_strideIiZZZN2at6native17logspace_cuda_outERKN3c106ScalarES6_ldRNS1_6TensorEENKUlvE_clEvENKUlvE0_clEvEUllE_EEvT_T0_PN15function_traitsISD_E11result_typeE
	.p2align	8
	.type	_ZN12_GLOBAL__N_141elementwise_kernel_with_index_grid_strideIiZZZN2at6native17logspace_cuda_outERKN3c106ScalarES6_ldRNS1_6TensorEENKUlvE_clEvENKUlvE0_clEvEUllE_EEvT_T0_PN15function_traitsISD_E11result_typeE,@function
_ZN12_GLOBAL__N_141elementwise_kernel_with_index_grid_strideIiZZZN2at6native17logspace_cuda_outERKN3c106ScalarES6_ldRNS1_6TensorEENKUlvE_clEvENKUlvE0_clEvEUllE_EEvT_T0_PN15function_traitsISD_E11result_typeE: ; @_ZN12_GLOBAL__N_141elementwise_kernel_with_index_grid_strideIiZZZN2at6native17logspace_cuda_outERKN3c106ScalarES6_ldRNS1_6TensorEENKUlvE_clEvENKUlvE0_clEvEUllE_EEvT_T0_PN15function_traitsISD_E11result_typeE
; %bb.0:
	s_clause 0x1
	s_load_dword s2, s[4:5], 0x3c
	s_load_dword s3, s[4:5], 0x0
	s_add_u32 s0, s4, 48
	s_addc_u32 s1, s5, 0
	s_waitcnt lgkmcnt(0)
	s_and_b32 s2, s2, 0xffff
	v_mad_u64_u32 v[0:1], null, s6, s2, v[0:1]
	s_mov_b32 s6, exec_lo
	v_cmpx_gt_i32_e64 s3, v0
	s_cbranch_execz .LBB24_7
; %bb.1:
	s_load_dword s0, s[0:1], 0x0
	s_clause 0x2
	s_load_dwordx4 s[8:11], s[4:5], 0x8
	s_load_dword s12, s[4:5], 0x18
	s_load_dwordx4 s[4:7], s[4:5], 0x20
	v_ashrrev_i32_e32 v1, 31, v0
	v_not_b32_e32 v2, v0
	s_mov_b32 s14, 0x3e76c4e1
	v_not_b32_e32 v3, v1
	s_waitcnt lgkmcnt(0)
	s_mul_i32 s13, s0, s2
	s_and_b32 s0, s8, 0xffff
	s_bfe_i32 s1, s8, 0x80000
	s_sext_i32_i16 s0, s0
	s_sext_i32_i16 s1, s1
	s_ashr_i32 s0, s0, 8
	v_add_co_u32 v2, vcc_lo, v2, s10
	v_cmp_eq_f32_e64 s8, s9, 1.0
	v_cvt_f32_i32_e32 v4, s1
	v_cvt_f32_i32_e32 v5, s0
	v_add_co_ci_u32_e64 v3, null, s11, v3, vcc_lo
	s_ashr_i32 s10, s13, 31
	s_mov_b32 s11, 0
	s_branch .LBB24_3
.LBB24_2:                               ;   in Loop: Header=BB24_3 Depth=1
	s_or_b32 exec_lo, exec_lo, s0
	v_cndmask_b32_e64 v8, v6, 1.0, s8
	v_cmp_neq_f32_e32 vcc_lo, 0, v8
	v_cmp_neq_f32_e64 s15, v8, |v8|
	v_cndmask_b32_e64 v9, 1.0, s9, vcc_lo
	v_frexp_mant_f32_e64 v6, |v9|
	v_cmp_lt_f32_e64 s16, |v9|, 1.0
	v_cmp_eq_f32_e64 s2, 0, v9
	v_cmp_gt_f32_e32 vcc_lo, 0x3f2aaaab, v6
	s_xor_b32 s15, s15, s16
	v_cndmask_b32_e64 v7, 1.0, 2.0, vcc_lo
	v_mul_f32_e32 v6, v6, v7
	v_add_f32_e32 v7, 1.0, v6
	v_add_f32_e32 v11, -1.0, v6
	v_rcp_f32_e32 v10, v7
	v_add_f32_e32 v13, -1.0, v7
	v_sub_f32_e32 v6, v6, v13
	v_mul_f32_e32 v12, v11, v10
	v_mul_f32_e32 v14, v7, v12
	v_fma_f32 v7, v12, v7, -v14
	v_fmac_f32_e32 v7, v12, v6
	v_add_f32_e32 v6, v14, v7
	v_sub_f32_e32 v13, v11, v6
	v_sub_f32_e32 v14, v6, v14
	;; [unrolled: 1-line block ×5, first 2 shown]
	v_add_f32_e32 v6, v7, v6
	v_add_f32_e32 v6, v13, v6
	v_mul_f32_e32 v6, v10, v6
	v_add_f32_e32 v10, v12, v6
	v_sub_f32_e32 v7, v10, v12
	v_mul_f32_e32 v11, v10, v10
	v_sub_f32_e32 v12, v6, v7
	v_fma_f32 v6, v10, v10, -v11
	v_add_f32_e32 v7, v12, v12
	v_fmac_f32_e32 v6, v10, v7
	v_add_f32_e32 v13, v11, v6
	v_fmaak_f32 v7, s14, v13, 0x3e91f4c4
	v_sub_f32_e32 v11, v13, v11
	v_mul_f32_e32 v18, v10, v13
	v_fmaak_f32 v7, v13, v7, 0x3ecccdef
	v_sub_f32_e32 v11, v6, v11
	v_fma_f32 v19, v13, v10, -v18
	v_mul_f32_e32 v14, v13, v7
	v_fmac_f32_e32 v19, v13, v12
	v_ldexp_f32 v12, v12, 1
	v_fma_f32 v15, v13, v7, -v14
	v_fmac_f32_e32 v19, v11, v10
	v_fmac_f32_e32 v15, v11, v7
	v_cvt_f64_f32_e64 v[6:7], |v9|
	v_add_f32_e32 v16, v14, v15
	v_sub_f32_e32 v14, v16, v14
	v_add_f32_e32 v17, 0x3f2aaaaa, v16
	v_sub_f32_e32 v14, v15, v14
	v_add_f32_e32 v15, 0xbf2aaaaa, v17
	v_add_f32_e32 v14, 0x31739010, v14
	v_sub_f32_e32 v15, v16, v15
	v_frexp_exp_i32_f64_e32 v6, v[6:7]
	v_add_f32_e32 v13, v14, v15
	v_add_f32_e32 v14, v18, v19
	;; [unrolled: 1-line block ×3, first 2 shown]
	v_sub_f32_e32 v16, v14, v18
	v_sub_f32_e32 v7, v17, v11
	v_mul_f32_e32 v15, v14, v11
	v_sub_f32_e32 v16, v19, v16
	v_add_f32_e32 v7, v13, v7
	v_fma_f32 v13, v14, v11, -v15
	v_subrev_co_ci_u32_e64 v6, null, 0, v6, vcc_lo
	v_fmac_f32_e32 v13, v14, v7
	v_ldexp_f32 v7, v10, 1
	v_cvt_f32_i32_e32 v6, v6
	v_fmac_f32_e32 v13, v16, v11
	v_add_f32_e32 v10, v15, v13
	v_add_f32_e32 v11, v7, v10
	v_sub_f32_e32 v14, v10, v15
	v_mul_f32_e32 v15, 0x3f317218, v6
	v_sub_f32_e32 v7, v11, v7
	v_sub_f32_e32 v13, v13, v14
	v_fma_f32 v14, 0x3f317218, v6, -v15
	v_sub_f32_e32 v7, v10, v7
	v_add_f32_e32 v10, v12, v13
	v_fmac_f32_e32 v14, 0xb102e308, v6
	v_add_f32_e32 v6, v10, v7
	v_add_f32_e32 v7, v15, v14
	;; [unrolled: 1-line block ×3, first 2 shown]
	v_sub_f32_e32 v15, v7, v15
	v_add_f32_e32 v12, v7, v10
	v_sub_f32_e32 v11, v10, v11
	v_sub_f32_e32 v14, v14, v15
	;; [unrolled: 1-line block ×6, first 2 shown]
	v_add_f32_e32 v11, v14, v6
	v_sub_f32_e32 v7, v7, v16
	v_add_f32_e32 v7, v10, v7
	v_sub_f32_e32 v10, v11, v14
	;; [unrolled: 2-line block ×3, first 2 shown]
	v_sub_f32_e32 v6, v6, v10
	v_add_f32_e32 v13, v12, v7
	v_sub_f32_e32 v10, v14, v11
	v_sub_f32_e32 v11, v13, v12
	v_add_f32_e32 v6, v6, v10
	v_sub_f32_e32 v7, v7, v11
	v_add_f32_e32 v6, v6, v7
	v_add_f32_e32 v7, v13, v6
	v_sub_f32_e32 v10, v7, v13
	v_mul_f32_e32 v11, v8, v7
	v_sub_f32_e32 v6, v6, v10
	v_fma_f32 v7, v8, v7, -v11
	v_cmp_class_f32_e64 vcc_lo, v11, 0x204
	v_fmac_f32_e32 v7, v8, v6
	v_add_f32_e32 v6, v11, v7
	v_cndmask_b32_e32 v10, v6, v11, vcc_lo
	v_sub_f32_e32 v6, v6, v11
	v_cmp_eq_f32_e32 vcc_lo, 0x42b17218, v10
	v_sub_f32_e32 v6, v7, v6
	v_cndmask_b32_e64 v12, 0, 0x37000000, vcc_lo
	v_cmp_neq_f32_e64 vcc_lo, 0x7f800000, |v10|
	v_sub_f32_e32 v13, v10, v12
	v_cndmask_b32_e32 v6, 0, v6, vcc_lo
	v_trunc_f32_e32 v10, v8
	v_mul_f32_e32 v14, 0x3fb8aa3b, v13
	v_cmp_ngt_f32_e32 vcc_lo, 0xc2ce8ed0, v13
	v_add_f32_e32 v6, v12, v6
	v_fma_f32 v15, 0x3fb8aa3b, v13, -v14
	v_rndne_f32_e32 v16, v14
	v_fmac_f32_e32 v15, 0x32a5705f, v13
	v_sub_f32_e32 v14, v14, v16
	v_cvt_i32_f32_e32 v11, v16
	v_add_f32_e32 v14, v14, v15
	v_exp_f32_e32 v14, v14
	v_ldexp_f32 v7, v14, v11
	v_mul_f32_e32 v11, 0.5, v8
	v_cndmask_b32_e32 v7, 0, v7, vcc_lo
	v_cmp_nlt_f32_e32 vcc_lo, 0x42b17218, v13
	v_trunc_f32_e32 v14, v11
	v_cndmask_b32_e32 v7, 0x7f800000, v7, vcc_lo
	v_cmp_eq_f32_e32 vcc_lo, v10, v8
	v_cmp_neq_f32_e64 s0, v14, v11
	v_fma_f32 v6, v7, v6, v7
	v_cmp_class_f32_e64 s1, v7, 0x204
	s_and_b32 s0, vcc_lo, s0
	v_cndmask_b32_e64 v10, 1.0, v9, s0
	v_cndmask_b32_e64 v12, 0, v9, s0
	v_cndmask_b32_e64 v6, v6, v7, s1
	;; [unrolled: 1-line block ×3, first 2 shown]
	v_cmp_gt_f32_e64 s1, 0, v8
	v_cmp_class_f32_e64 s0, v9, 0x204
	v_bfi_b32 v6, 0x7fffffff, v6, v10
	s_xor_b32 s1, s1, s2
	v_cndmask_b32_e64 v10, 0x7f800000, 0, s1
	v_cndmask_b32_e32 v11, 0x7fc00000, v6, vcc_lo
	v_cmp_neq_f32_e64 vcc_lo, |v9|, 1.0
	v_cmp_o_f32_e64 s1, v9, v8
	v_bfi_b32 v10, 0x7fffffff, v10, v12
	v_cndmask_b32_e32 v7, 1.0, v7, vcc_lo
	v_cmp_gt_f32_e32 vcc_lo, 0, v9
	v_cndmask_b32_e32 v6, v6, v11, vcc_lo
	v_cmp_class_f32_e64 vcc_lo, v8, 0x204
	v_cndmask_b32_e32 v6, v6, v7, vcc_lo
	s_or_b32 vcc_lo, s2, s0
	v_cndmask_b32_e32 v7, v6, v10, vcc_lo
	v_add_co_u32 v6, vcc_lo, s6, v0
	v_add_co_u32 v0, s0, v0, s13
	v_cndmask_b32_e64 v8, 0x7fc00000, v7, s1
	v_add_co_ci_u32_e64 v7, null, s7, v1, vcc_lo
	v_add_co_ci_u32_e64 v1, null, s10, v1, s0
	v_cmp_le_i32_e32 vcc_lo, s3, v0
	v_sub_co_u32 v2, s0, v2, s13
	v_cvt_i32_f32_e32 v8, v8
	v_subrev_co_ci_u32_e64 v3, null, s10, v3, s0
	s_or_b32 s11, vcc_lo, s11
	global_store_byte v[6:7], v8, off
	s_andn2_b32 exec_lo, exec_lo, s11
	s_cbranch_execz .LBB24_7
.LBB24_3:                               ; =>This Inner Loop Header: Depth=1
	s_mov_b32 s0, exec_lo
                                        ; implicit-def: $vgpr6
	v_cmpx_le_i64_e64 s[4:5], v[0:1]
	s_xor_b32 s0, exec_lo, s0
	s_cbranch_execz .LBB24_5
; %bb.4:                                ;   in Loop: Header=BB24_3 Depth=1
	v_xor_b32_e32 v6, v2, v3
	v_ffbh_i32_e32 v7, v3
	v_ashrrev_i32_e32 v6, 31, v6
	v_add_nc_u32_e32 v7, -1, v7
	v_add_nc_u32_e32 v6, 32, v6
	v_min_u32_e32 v8, v7, v6
	v_lshlrev_b64 v[6:7], v8, v[2:3]
	v_min_u32_e32 v6, 1, v6
	v_or_b32_e32 v6, v7, v6
	v_sub_nc_u32_e32 v7, 32, v8
	v_cvt_f32_i32_e32 v6, v6
	v_ldexp_f32 v6, v6, v7
	v_fma_f32 v6, -s12, v6, v5
.LBB24_5:                               ;   in Loop: Header=BB24_3 Depth=1
	s_andn2_saveexec_b32 s0, s0
	s_cbranch_execz .LBB24_2
; %bb.6:                                ;   in Loop: Header=BB24_3 Depth=1
	v_cvt_f32_i32_e32 v6, v0
	v_fma_f32 v6, s12, v6, v4
	s_branch .LBB24_2
.LBB24_7:
	s_endpgm
	.section	.rodata,"a",@progbits
	.p2align	6, 0x0
	.amdhsa_kernel _ZN12_GLOBAL__N_141elementwise_kernel_with_index_grid_strideIiZZZN2at6native17logspace_cuda_outERKN3c106ScalarES6_ldRNS1_6TensorEENKUlvE_clEvENKUlvE0_clEvEUllE_EEvT_T0_PN15function_traitsISD_E11result_typeE
		.amdhsa_group_segment_fixed_size 0
		.amdhsa_private_segment_fixed_size 0
		.amdhsa_kernarg_size 304
		.amdhsa_user_sgpr_count 6
		.amdhsa_user_sgpr_private_segment_buffer 1
		.amdhsa_user_sgpr_dispatch_ptr 0
		.amdhsa_user_sgpr_queue_ptr 0
		.amdhsa_user_sgpr_kernarg_segment_ptr 1
		.amdhsa_user_sgpr_dispatch_id 0
		.amdhsa_user_sgpr_flat_scratch_init 0
		.amdhsa_user_sgpr_private_segment_size 0
		.amdhsa_wavefront_size32 1
		.amdhsa_uses_dynamic_stack 0
		.amdhsa_system_sgpr_private_segment_wavefront_offset 0
		.amdhsa_system_sgpr_workgroup_id_x 1
		.amdhsa_system_sgpr_workgroup_id_y 0
		.amdhsa_system_sgpr_workgroup_id_z 0
		.amdhsa_system_sgpr_workgroup_info 0
		.amdhsa_system_vgpr_workitem_id 0
		.amdhsa_next_free_vgpr 20
		.amdhsa_next_free_sgpr 17
		.amdhsa_reserve_vcc 1
		.amdhsa_reserve_flat_scratch 0
		.amdhsa_float_round_mode_32 0
		.amdhsa_float_round_mode_16_64 0
		.amdhsa_float_denorm_mode_32 3
		.amdhsa_float_denorm_mode_16_64 3
		.amdhsa_dx10_clamp 1
		.amdhsa_ieee_mode 1
		.amdhsa_fp16_overflow 0
		.amdhsa_workgroup_processor_mode 1
		.amdhsa_memory_ordered 1
		.amdhsa_forward_progress 1
		.amdhsa_shared_vgpr_count 0
		.amdhsa_exception_fp_ieee_invalid_op 0
		.amdhsa_exception_fp_denorm_src 0
		.amdhsa_exception_fp_ieee_div_zero 0
		.amdhsa_exception_fp_ieee_overflow 0
		.amdhsa_exception_fp_ieee_underflow 0
		.amdhsa_exception_fp_ieee_inexact 0
		.amdhsa_exception_int_div_zero 0
	.end_amdhsa_kernel
	.section	.text._ZN12_GLOBAL__N_141elementwise_kernel_with_index_grid_strideIiZZZN2at6native17logspace_cuda_outERKN3c106ScalarES6_ldRNS1_6TensorEENKUlvE_clEvENKUlvE0_clEvEUllE_EEvT_T0_PN15function_traitsISD_E11result_typeE,"axG",@progbits,_ZN12_GLOBAL__N_141elementwise_kernel_with_index_grid_strideIiZZZN2at6native17logspace_cuda_outERKN3c106ScalarES6_ldRNS1_6TensorEENKUlvE_clEvENKUlvE0_clEvEUllE_EEvT_T0_PN15function_traitsISD_E11result_typeE,comdat
.Lfunc_end24:
	.size	_ZN12_GLOBAL__N_141elementwise_kernel_with_index_grid_strideIiZZZN2at6native17logspace_cuda_outERKN3c106ScalarES6_ldRNS1_6TensorEENKUlvE_clEvENKUlvE0_clEvEUllE_EEvT_T0_PN15function_traitsISD_E11result_typeE, .Lfunc_end24-_ZN12_GLOBAL__N_141elementwise_kernel_with_index_grid_strideIiZZZN2at6native17logspace_cuda_outERKN3c106ScalarES6_ldRNS1_6TensorEENKUlvE_clEvENKUlvE0_clEvEUllE_EEvT_T0_PN15function_traitsISD_E11result_typeE
                                        ; -- End function
	.set _ZN12_GLOBAL__N_141elementwise_kernel_with_index_grid_strideIiZZZN2at6native17logspace_cuda_outERKN3c106ScalarES6_ldRNS1_6TensorEENKUlvE_clEvENKUlvE0_clEvEUllE_EEvT_T0_PN15function_traitsISD_E11result_typeE.num_vgpr, 20
	.set _ZN12_GLOBAL__N_141elementwise_kernel_with_index_grid_strideIiZZZN2at6native17logspace_cuda_outERKN3c106ScalarES6_ldRNS1_6TensorEENKUlvE_clEvENKUlvE0_clEvEUllE_EEvT_T0_PN15function_traitsISD_E11result_typeE.num_agpr, 0
	.set _ZN12_GLOBAL__N_141elementwise_kernel_with_index_grid_strideIiZZZN2at6native17logspace_cuda_outERKN3c106ScalarES6_ldRNS1_6TensorEENKUlvE_clEvENKUlvE0_clEvEUllE_EEvT_T0_PN15function_traitsISD_E11result_typeE.numbered_sgpr, 17
	.set _ZN12_GLOBAL__N_141elementwise_kernel_with_index_grid_strideIiZZZN2at6native17logspace_cuda_outERKN3c106ScalarES6_ldRNS1_6TensorEENKUlvE_clEvENKUlvE0_clEvEUllE_EEvT_T0_PN15function_traitsISD_E11result_typeE.num_named_barrier, 0
	.set _ZN12_GLOBAL__N_141elementwise_kernel_with_index_grid_strideIiZZZN2at6native17logspace_cuda_outERKN3c106ScalarES6_ldRNS1_6TensorEENKUlvE_clEvENKUlvE0_clEvEUllE_EEvT_T0_PN15function_traitsISD_E11result_typeE.private_seg_size, 0
	.set _ZN12_GLOBAL__N_141elementwise_kernel_with_index_grid_strideIiZZZN2at6native17logspace_cuda_outERKN3c106ScalarES6_ldRNS1_6TensorEENKUlvE_clEvENKUlvE0_clEvEUllE_EEvT_T0_PN15function_traitsISD_E11result_typeE.uses_vcc, 1
	.set _ZN12_GLOBAL__N_141elementwise_kernel_with_index_grid_strideIiZZZN2at6native17logspace_cuda_outERKN3c106ScalarES6_ldRNS1_6TensorEENKUlvE_clEvENKUlvE0_clEvEUllE_EEvT_T0_PN15function_traitsISD_E11result_typeE.uses_flat_scratch, 0
	.set _ZN12_GLOBAL__N_141elementwise_kernel_with_index_grid_strideIiZZZN2at6native17logspace_cuda_outERKN3c106ScalarES6_ldRNS1_6TensorEENKUlvE_clEvENKUlvE0_clEvEUllE_EEvT_T0_PN15function_traitsISD_E11result_typeE.has_dyn_sized_stack, 0
	.set _ZN12_GLOBAL__N_141elementwise_kernel_with_index_grid_strideIiZZZN2at6native17logspace_cuda_outERKN3c106ScalarES6_ldRNS1_6TensorEENKUlvE_clEvENKUlvE0_clEvEUllE_EEvT_T0_PN15function_traitsISD_E11result_typeE.has_recursion, 0
	.set _ZN12_GLOBAL__N_141elementwise_kernel_with_index_grid_strideIiZZZN2at6native17logspace_cuda_outERKN3c106ScalarES6_ldRNS1_6TensorEENKUlvE_clEvENKUlvE0_clEvEUllE_EEvT_T0_PN15function_traitsISD_E11result_typeE.has_indirect_call, 0
	.section	.AMDGPU.csdata,"",@progbits
; Kernel info:
; codeLenInByte = 1320
; TotalNumSgprs: 19
; NumVgprs: 20
; ScratchSize: 0
; MemoryBound: 0
; FloatMode: 240
; IeeeMode: 1
; LDSByteSize: 0 bytes/workgroup (compile time only)
; SGPRBlocks: 0
; VGPRBlocks: 2
; NumSGPRsForWavesPerEU: 19
; NumVGPRsForWavesPerEU: 20
; Occupancy: 16
; WaveLimiterHint : 0
; COMPUTE_PGM_RSRC2:SCRATCH_EN: 0
; COMPUTE_PGM_RSRC2:USER_SGPR: 6
; COMPUTE_PGM_RSRC2:TRAP_HANDLER: 0
; COMPUTE_PGM_RSRC2:TGID_X_EN: 1
; COMPUTE_PGM_RSRC2:TGID_Y_EN: 0
; COMPUTE_PGM_RSRC2:TGID_Z_EN: 0
; COMPUTE_PGM_RSRC2:TIDIG_COMP_CNT: 0
	.section	.text._ZN12_GLOBAL__N_141elementwise_kernel_with_index_grid_strideIlZZZN2at6native17logspace_cuda_outERKN3c106ScalarES6_ldRNS1_6TensorEENKUlvE_clEvENKUlvE0_clEvEUllE_EEvT_T0_PN15function_traitsISD_E11result_typeE,"axG",@progbits,_ZN12_GLOBAL__N_141elementwise_kernel_with_index_grid_strideIlZZZN2at6native17logspace_cuda_outERKN3c106ScalarES6_ldRNS1_6TensorEENKUlvE_clEvENKUlvE0_clEvEUllE_EEvT_T0_PN15function_traitsISD_E11result_typeE,comdat
	.globl	_ZN12_GLOBAL__N_141elementwise_kernel_with_index_grid_strideIlZZZN2at6native17logspace_cuda_outERKN3c106ScalarES6_ldRNS1_6TensorEENKUlvE_clEvENKUlvE0_clEvEUllE_EEvT_T0_PN15function_traitsISD_E11result_typeE ; -- Begin function _ZN12_GLOBAL__N_141elementwise_kernel_with_index_grid_strideIlZZZN2at6native17logspace_cuda_outERKN3c106ScalarES6_ldRNS1_6TensorEENKUlvE_clEvENKUlvE0_clEvEUllE_EEvT_T0_PN15function_traitsISD_E11result_typeE
	.p2align	8
	.type	_ZN12_GLOBAL__N_141elementwise_kernel_with_index_grid_strideIlZZZN2at6native17logspace_cuda_outERKN3c106ScalarES6_ldRNS1_6TensorEENKUlvE_clEvENKUlvE0_clEvEUllE_EEvT_T0_PN15function_traitsISD_E11result_typeE,@function
_ZN12_GLOBAL__N_141elementwise_kernel_with_index_grid_strideIlZZZN2at6native17logspace_cuda_outERKN3c106ScalarES6_ldRNS1_6TensorEENKUlvE_clEvENKUlvE0_clEvEUllE_EEvT_T0_PN15function_traitsISD_E11result_typeE: ; @_ZN12_GLOBAL__N_141elementwise_kernel_with_index_grid_strideIlZZZN2at6native17logspace_cuda_outERKN3c106ScalarES6_ldRNS1_6TensorEENKUlvE_clEvENKUlvE0_clEvEUllE_EEvT_T0_PN15function_traitsISD_E11result_typeE
; %bb.0:
	s_clause 0x1
	s_load_dword s2, s[4:5], 0x3c
	s_load_dwordx2 s[12:13], s[4:5], 0x0
	v_mov_b32_e32 v1, 0
	s_add_u32 s0, s4, 48
	s_addc_u32 s1, s5, 0
	s_mov_b32 s3, exec_lo
	s_waitcnt lgkmcnt(0)
	s_and_b32 s2, s2, 0xffff
	v_mad_u64_u32 v[0:1], null, s2, s6, v[0:1]
	v_cmpx_gt_i64_e64 s[12:13], v[0:1]
	s_cbranch_execz .LBB25_7
; %bb.1:
	s_load_dwordx4 s[8:11], s[4:5], 0x8
	s_load_dword s0, s[0:1], 0x0
	s_clause 0x1
	s_load_dword s3, s[4:5], 0x18
	s_load_dwordx4 s[4:7], s[4:5], 0x20
	v_not_b32_e32 v2, v0
	v_not_b32_e32 v3, v1
	s_mov_b32 s14, 0
	s_waitcnt lgkmcnt(0)
	s_and_b32 s1, s8, 0xffff
	s_bfe_i32 s15, s8, 0x80000
	s_sext_i32_i16 s1, s1
	s_sext_i32_i16 s15, s15
	s_ashr_i32 s1, s1, 8
	v_add_co_u32 v2, vcc_lo, v2, s10
	v_cmp_eq_f32_e64 s8, s9, 1.0
	v_cvt_f32_i32_e32 v4, s15
	v_cvt_f32_i32_e32 v5, s1
	v_add_co_ci_u32_e64 v3, null, s11, v3, vcc_lo
	s_mul_hi_u32 s10, s2, s0
	s_mul_i32 s11, s2, s0
	s_mov_b32 s15, 0x3e76c4e1
	s_branch .LBB25_3
.LBB25_2:                               ;   in Loop: Header=BB25_3 Depth=1
	s_or_b32 exec_lo, exec_lo, s0
	v_cndmask_b32_e64 v8, v6, 1.0, s8
	v_cmp_neq_f32_e32 vcc_lo, 0, v8
	v_cmp_neq_f32_e64 s16, v8, |v8|
	v_cndmask_b32_e64 v9, 1.0, s9, vcc_lo
	v_frexp_mant_f32_e64 v6, |v9|
	v_cmp_lt_f32_e64 s17, |v9|, 1.0
	v_cmp_eq_f32_e64 s2, 0, v9
	v_cmp_gt_f32_e32 vcc_lo, 0x3f2aaaab, v6
	s_xor_b32 s16, s16, s17
	v_cndmask_b32_e64 v7, 1.0, 2.0, vcc_lo
	v_mul_f32_e32 v6, v6, v7
	v_add_f32_e32 v7, 1.0, v6
	v_add_f32_e32 v11, -1.0, v6
	v_rcp_f32_e32 v10, v7
	v_add_f32_e32 v13, -1.0, v7
	v_sub_f32_e32 v6, v6, v13
	v_mul_f32_e32 v12, v11, v10
	v_mul_f32_e32 v14, v7, v12
	v_fma_f32 v7, v12, v7, -v14
	v_fmac_f32_e32 v7, v12, v6
	v_add_f32_e32 v6, v14, v7
	v_sub_f32_e32 v13, v11, v6
	v_sub_f32_e32 v14, v6, v14
	;; [unrolled: 1-line block ×5, first 2 shown]
	v_add_f32_e32 v6, v7, v6
	v_add_f32_e32 v6, v13, v6
	v_mul_f32_e32 v6, v10, v6
	v_add_f32_e32 v10, v12, v6
	v_sub_f32_e32 v7, v10, v12
	v_mul_f32_e32 v11, v10, v10
	v_sub_f32_e32 v12, v6, v7
	v_fma_f32 v6, v10, v10, -v11
	v_add_f32_e32 v7, v12, v12
	v_fmac_f32_e32 v6, v10, v7
	v_add_f32_e32 v13, v11, v6
	v_fmaak_f32 v7, s15, v13, 0x3e91f4c4
	v_sub_f32_e32 v11, v13, v11
	v_mul_f32_e32 v18, v10, v13
	v_fmaak_f32 v7, v13, v7, 0x3ecccdef
	v_sub_f32_e32 v11, v6, v11
	v_fma_f32 v19, v13, v10, -v18
	v_mul_f32_e32 v14, v13, v7
	v_fmac_f32_e32 v19, v13, v12
	v_ldexp_f32 v12, v12, 1
	v_fma_f32 v15, v13, v7, -v14
	v_fmac_f32_e32 v19, v11, v10
	v_fmac_f32_e32 v15, v11, v7
	v_cvt_f64_f32_e64 v[6:7], |v9|
	v_add_f32_e32 v16, v14, v15
	v_sub_f32_e32 v14, v16, v14
	v_add_f32_e32 v17, 0x3f2aaaaa, v16
	v_sub_f32_e32 v14, v15, v14
	v_add_f32_e32 v15, 0xbf2aaaaa, v17
	v_add_f32_e32 v14, 0x31739010, v14
	v_sub_f32_e32 v15, v16, v15
	v_frexp_exp_i32_f64_e32 v6, v[6:7]
	v_add_f32_e32 v13, v14, v15
	v_add_f32_e32 v14, v18, v19
	;; [unrolled: 1-line block ×3, first 2 shown]
	v_sub_f32_e32 v16, v14, v18
	v_sub_f32_e32 v7, v17, v11
	v_mul_f32_e32 v15, v14, v11
	v_sub_f32_e32 v16, v19, v16
	v_add_f32_e32 v7, v13, v7
	v_fma_f32 v13, v14, v11, -v15
	v_subrev_co_ci_u32_e64 v6, null, 0, v6, vcc_lo
	v_fmac_f32_e32 v13, v14, v7
	v_ldexp_f32 v7, v10, 1
	v_cvt_f32_i32_e32 v6, v6
	v_fmac_f32_e32 v13, v16, v11
	v_add_f32_e32 v10, v15, v13
	v_add_f32_e32 v11, v7, v10
	v_sub_f32_e32 v14, v10, v15
	v_mul_f32_e32 v15, 0x3f317218, v6
	v_sub_f32_e32 v7, v11, v7
	v_sub_f32_e32 v13, v13, v14
	v_fma_f32 v14, 0x3f317218, v6, -v15
	v_sub_f32_e32 v7, v10, v7
	v_add_f32_e32 v10, v12, v13
	v_fmac_f32_e32 v14, 0xb102e308, v6
	v_add_f32_e32 v6, v10, v7
	v_add_f32_e32 v7, v15, v14
	v_add_f32_e32 v10, v11, v6
	v_sub_f32_e32 v15, v7, v15
	v_add_f32_e32 v12, v7, v10
	v_sub_f32_e32 v11, v10, v11
	v_sub_f32_e32 v14, v14, v15
	;; [unrolled: 1-line block ×6, first 2 shown]
	v_add_f32_e32 v11, v14, v6
	v_sub_f32_e32 v7, v7, v16
	v_add_f32_e32 v7, v10, v7
	v_sub_f32_e32 v10, v11, v14
	;; [unrolled: 2-line block ×3, first 2 shown]
	v_sub_f32_e32 v6, v6, v10
	v_add_f32_e32 v13, v12, v7
	v_sub_f32_e32 v10, v14, v11
	v_sub_f32_e32 v11, v13, v12
	v_add_f32_e32 v6, v6, v10
	v_sub_f32_e32 v7, v7, v11
	v_add_f32_e32 v6, v6, v7
	v_add_f32_e32 v7, v13, v6
	v_sub_f32_e32 v10, v7, v13
	v_mul_f32_e32 v11, v8, v7
	v_sub_f32_e32 v6, v6, v10
	v_fma_f32 v7, v8, v7, -v11
	v_cmp_class_f32_e64 vcc_lo, v11, 0x204
	v_fmac_f32_e32 v7, v8, v6
	v_add_f32_e32 v6, v11, v7
	v_cndmask_b32_e32 v10, v6, v11, vcc_lo
	v_sub_f32_e32 v6, v6, v11
	v_cmp_eq_f32_e32 vcc_lo, 0x42b17218, v10
	v_sub_f32_e32 v6, v7, v6
	v_cndmask_b32_e64 v12, 0, 0x37000000, vcc_lo
	v_cmp_neq_f32_e64 vcc_lo, 0x7f800000, |v10|
	v_sub_f32_e32 v13, v10, v12
	v_cndmask_b32_e32 v6, 0, v6, vcc_lo
	v_trunc_f32_e32 v10, v8
	v_mul_f32_e32 v14, 0x3fb8aa3b, v13
	v_cmp_ngt_f32_e32 vcc_lo, 0xc2ce8ed0, v13
	v_add_f32_e32 v6, v12, v6
	v_fma_f32 v15, 0x3fb8aa3b, v13, -v14
	v_rndne_f32_e32 v16, v14
	v_fmac_f32_e32 v15, 0x32a5705f, v13
	v_sub_f32_e32 v14, v14, v16
	v_cvt_i32_f32_e32 v11, v16
	v_add_f32_e32 v14, v14, v15
	v_exp_f32_e32 v14, v14
	v_ldexp_f32 v7, v14, v11
	v_mul_f32_e32 v11, 0.5, v8
	v_cndmask_b32_e32 v7, 0, v7, vcc_lo
	v_cmp_nlt_f32_e32 vcc_lo, 0x42b17218, v13
	v_trunc_f32_e32 v14, v11
	v_cndmask_b32_e32 v7, 0x7f800000, v7, vcc_lo
	v_cmp_eq_f32_e32 vcc_lo, v10, v8
	v_cmp_neq_f32_e64 s0, v14, v11
	v_fma_f32 v6, v7, v6, v7
	v_cmp_class_f32_e64 s1, v7, 0x204
	s_and_b32 s0, vcc_lo, s0
	v_cndmask_b32_e64 v10, 1.0, v9, s0
	v_cndmask_b32_e64 v12, 0, v9, s0
	v_cndmask_b32_e64 v6, v6, v7, s1
	v_cndmask_b32_e64 v7, 0x7f800000, 0, s16
	v_cmp_gt_f32_e64 s1, 0, v8
	v_cmp_class_f32_e64 s0, v9, 0x204
	v_bfi_b32 v6, 0x7fffffff, v6, v10
	s_xor_b32 s1, s1, s2
	v_cndmask_b32_e64 v10, 0x7f800000, 0, s1
	v_cndmask_b32_e32 v11, 0x7fc00000, v6, vcc_lo
	v_cmp_neq_f32_e64 vcc_lo, |v9|, 1.0
	v_bfi_b32 v10, 0x7fffffff, v10, v12
	v_cndmask_b32_e32 v7, 1.0, v7, vcc_lo
	v_cmp_gt_f32_e32 vcc_lo, 0, v9
	v_cndmask_b32_e32 v6, v6, v11, vcc_lo
	v_cmp_class_f32_e64 vcc_lo, v8, 0x204
	v_cndmask_b32_e32 v11, v6, v7, vcc_lo
	v_add_co_u32 v6, vcc_lo, s6, v0
	v_add_co_ci_u32_e64 v7, null, s7, v1, vcc_lo
	s_or_b32 vcc_lo, s2, s0
	v_sub_co_u32 v2, s0, v2, s11
	v_cndmask_b32_e32 v10, v11, v10, vcc_lo
	v_add_co_u32 v0, vcc_lo, v0, s11
	v_add_co_ci_u32_e64 v1, null, s10, v1, vcc_lo
	v_cmp_o_f32_e32 vcc_lo, v9, v8
	v_subrev_co_ci_u32_e64 v3, null, s10, v3, s0
	v_cndmask_b32_e32 v8, 0x7fc00000, v10, vcc_lo
	v_cmp_le_i64_e32 vcc_lo, s[12:13], v[0:1]
	v_cvt_i32_f32_e32 v8, v8
	s_or_b32 s14, vcc_lo, s14
	global_store_byte v[6:7], v8, off
	s_andn2_b32 exec_lo, exec_lo, s14
	s_cbranch_execz .LBB25_7
.LBB25_3:                               ; =>This Inner Loop Header: Depth=1
	s_mov_b32 s0, exec_lo
                                        ; implicit-def: $vgpr6
	v_cmpx_le_i64_e64 s[4:5], v[0:1]
	s_xor_b32 s0, exec_lo, s0
	s_cbranch_execz .LBB25_5
; %bb.4:                                ;   in Loop: Header=BB25_3 Depth=1
	v_xor_b32_e32 v6, v2, v3
	v_ffbh_i32_e32 v7, v3
	v_ashrrev_i32_e32 v6, 31, v6
	v_add_nc_u32_e32 v7, -1, v7
	v_add_nc_u32_e32 v6, 32, v6
	v_min_u32_e32 v8, v7, v6
	v_lshlrev_b64 v[6:7], v8, v[2:3]
	v_min_u32_e32 v6, 1, v6
	v_or_b32_e32 v6, v7, v6
	v_sub_nc_u32_e32 v7, 32, v8
	v_cvt_f32_i32_e32 v6, v6
	v_ldexp_f32 v6, v6, v7
	v_fma_f32 v6, -s3, v6, v5
.LBB25_5:                               ;   in Loop: Header=BB25_3 Depth=1
	s_andn2_saveexec_b32 s0, s0
	s_cbranch_execz .LBB25_2
; %bb.6:                                ;   in Loop: Header=BB25_3 Depth=1
	v_ffbh_u32_e32 v6, v1
	v_min_u32_e32 v8, 32, v6
	v_lshlrev_b64 v[6:7], v8, v[0:1]
	v_min_u32_e32 v6, 1, v6
	v_or_b32_e32 v6, v7, v6
	v_sub_nc_u32_e32 v7, 32, v8
	v_cvt_f32_u32_e32 v6, v6
	v_ldexp_f32 v6, v6, v7
	v_fma_f32 v6, s3, v6, v4
	s_branch .LBB25_2
.LBB25_7:
	s_endpgm
	.section	.rodata,"a",@progbits
	.p2align	6, 0x0
	.amdhsa_kernel _ZN12_GLOBAL__N_141elementwise_kernel_with_index_grid_strideIlZZZN2at6native17logspace_cuda_outERKN3c106ScalarES6_ldRNS1_6TensorEENKUlvE_clEvENKUlvE0_clEvEUllE_EEvT_T0_PN15function_traitsISD_E11result_typeE
		.amdhsa_group_segment_fixed_size 0
		.amdhsa_private_segment_fixed_size 0
		.amdhsa_kernarg_size 304
		.amdhsa_user_sgpr_count 6
		.amdhsa_user_sgpr_private_segment_buffer 1
		.amdhsa_user_sgpr_dispatch_ptr 0
		.amdhsa_user_sgpr_queue_ptr 0
		.amdhsa_user_sgpr_kernarg_segment_ptr 1
		.amdhsa_user_sgpr_dispatch_id 0
		.amdhsa_user_sgpr_flat_scratch_init 0
		.amdhsa_user_sgpr_private_segment_size 0
		.amdhsa_wavefront_size32 1
		.amdhsa_uses_dynamic_stack 0
		.amdhsa_system_sgpr_private_segment_wavefront_offset 0
		.amdhsa_system_sgpr_workgroup_id_x 1
		.amdhsa_system_sgpr_workgroup_id_y 0
		.amdhsa_system_sgpr_workgroup_id_z 0
		.amdhsa_system_sgpr_workgroup_info 0
		.amdhsa_system_vgpr_workitem_id 0
		.amdhsa_next_free_vgpr 20
		.amdhsa_next_free_sgpr 18
		.amdhsa_reserve_vcc 1
		.amdhsa_reserve_flat_scratch 0
		.amdhsa_float_round_mode_32 0
		.amdhsa_float_round_mode_16_64 0
		.amdhsa_float_denorm_mode_32 3
		.amdhsa_float_denorm_mode_16_64 3
		.amdhsa_dx10_clamp 1
		.amdhsa_ieee_mode 1
		.amdhsa_fp16_overflow 0
		.amdhsa_workgroup_processor_mode 1
		.amdhsa_memory_ordered 1
		.amdhsa_forward_progress 1
		.amdhsa_shared_vgpr_count 0
		.amdhsa_exception_fp_ieee_invalid_op 0
		.amdhsa_exception_fp_denorm_src 0
		.amdhsa_exception_fp_ieee_div_zero 0
		.amdhsa_exception_fp_ieee_overflow 0
		.amdhsa_exception_fp_ieee_underflow 0
		.amdhsa_exception_fp_ieee_inexact 0
		.amdhsa_exception_int_div_zero 0
	.end_amdhsa_kernel
	.section	.text._ZN12_GLOBAL__N_141elementwise_kernel_with_index_grid_strideIlZZZN2at6native17logspace_cuda_outERKN3c106ScalarES6_ldRNS1_6TensorEENKUlvE_clEvENKUlvE0_clEvEUllE_EEvT_T0_PN15function_traitsISD_E11result_typeE,"axG",@progbits,_ZN12_GLOBAL__N_141elementwise_kernel_with_index_grid_strideIlZZZN2at6native17logspace_cuda_outERKN3c106ScalarES6_ldRNS1_6TensorEENKUlvE_clEvENKUlvE0_clEvEUllE_EEvT_T0_PN15function_traitsISD_E11result_typeE,comdat
.Lfunc_end25:
	.size	_ZN12_GLOBAL__N_141elementwise_kernel_with_index_grid_strideIlZZZN2at6native17logspace_cuda_outERKN3c106ScalarES6_ldRNS1_6TensorEENKUlvE_clEvENKUlvE0_clEvEUllE_EEvT_T0_PN15function_traitsISD_E11result_typeE, .Lfunc_end25-_ZN12_GLOBAL__N_141elementwise_kernel_with_index_grid_strideIlZZZN2at6native17logspace_cuda_outERKN3c106ScalarES6_ldRNS1_6TensorEENKUlvE_clEvENKUlvE0_clEvEUllE_EEvT_T0_PN15function_traitsISD_E11result_typeE
                                        ; -- End function
	.set _ZN12_GLOBAL__N_141elementwise_kernel_with_index_grid_strideIlZZZN2at6native17logspace_cuda_outERKN3c106ScalarES6_ldRNS1_6TensorEENKUlvE_clEvENKUlvE0_clEvEUllE_EEvT_T0_PN15function_traitsISD_E11result_typeE.num_vgpr, 20
	.set _ZN12_GLOBAL__N_141elementwise_kernel_with_index_grid_strideIlZZZN2at6native17logspace_cuda_outERKN3c106ScalarES6_ldRNS1_6TensorEENKUlvE_clEvENKUlvE0_clEvEUllE_EEvT_T0_PN15function_traitsISD_E11result_typeE.num_agpr, 0
	.set _ZN12_GLOBAL__N_141elementwise_kernel_with_index_grid_strideIlZZZN2at6native17logspace_cuda_outERKN3c106ScalarES6_ldRNS1_6TensorEENKUlvE_clEvENKUlvE0_clEvEUllE_EEvT_T0_PN15function_traitsISD_E11result_typeE.numbered_sgpr, 18
	.set _ZN12_GLOBAL__N_141elementwise_kernel_with_index_grid_strideIlZZZN2at6native17logspace_cuda_outERKN3c106ScalarES6_ldRNS1_6TensorEENKUlvE_clEvENKUlvE0_clEvEUllE_EEvT_T0_PN15function_traitsISD_E11result_typeE.num_named_barrier, 0
	.set _ZN12_GLOBAL__N_141elementwise_kernel_with_index_grid_strideIlZZZN2at6native17logspace_cuda_outERKN3c106ScalarES6_ldRNS1_6TensorEENKUlvE_clEvENKUlvE0_clEvEUllE_EEvT_T0_PN15function_traitsISD_E11result_typeE.private_seg_size, 0
	.set _ZN12_GLOBAL__N_141elementwise_kernel_with_index_grid_strideIlZZZN2at6native17logspace_cuda_outERKN3c106ScalarES6_ldRNS1_6TensorEENKUlvE_clEvENKUlvE0_clEvEUllE_EEvT_T0_PN15function_traitsISD_E11result_typeE.uses_vcc, 1
	.set _ZN12_GLOBAL__N_141elementwise_kernel_with_index_grid_strideIlZZZN2at6native17logspace_cuda_outERKN3c106ScalarES6_ldRNS1_6TensorEENKUlvE_clEvENKUlvE0_clEvEUllE_EEvT_T0_PN15function_traitsISD_E11result_typeE.uses_flat_scratch, 0
	.set _ZN12_GLOBAL__N_141elementwise_kernel_with_index_grid_strideIlZZZN2at6native17logspace_cuda_outERKN3c106ScalarES6_ldRNS1_6TensorEENKUlvE_clEvENKUlvE0_clEvEUllE_EEvT_T0_PN15function_traitsISD_E11result_typeE.has_dyn_sized_stack, 0
	.set _ZN12_GLOBAL__N_141elementwise_kernel_with_index_grid_strideIlZZZN2at6native17logspace_cuda_outERKN3c106ScalarES6_ldRNS1_6TensorEENKUlvE_clEvENKUlvE0_clEvEUllE_EEvT_T0_PN15function_traitsISD_E11result_typeE.has_recursion, 0
	.set _ZN12_GLOBAL__N_141elementwise_kernel_with_index_grid_strideIlZZZN2at6native17logspace_cuda_outERKN3c106ScalarES6_ldRNS1_6TensorEENKUlvE_clEvENKUlvE0_clEvEUllE_EEvT_T0_PN15function_traitsISD_E11result_typeE.has_indirect_call, 0
	.section	.AMDGPU.csdata,"",@progbits
; Kernel info:
; codeLenInByte = 1348
; TotalNumSgprs: 20
; NumVgprs: 20
; ScratchSize: 0
; MemoryBound: 0
; FloatMode: 240
; IeeeMode: 1
; LDSByteSize: 0 bytes/workgroup (compile time only)
; SGPRBlocks: 0
; VGPRBlocks: 2
; NumSGPRsForWavesPerEU: 20
; NumVGPRsForWavesPerEU: 20
; Occupancy: 16
; WaveLimiterHint : 0
; COMPUTE_PGM_RSRC2:SCRATCH_EN: 0
; COMPUTE_PGM_RSRC2:USER_SGPR: 6
; COMPUTE_PGM_RSRC2:TRAP_HANDLER: 0
; COMPUTE_PGM_RSRC2:TGID_X_EN: 1
; COMPUTE_PGM_RSRC2:TGID_Y_EN: 0
; COMPUTE_PGM_RSRC2:TGID_Z_EN: 0
; COMPUTE_PGM_RSRC2:TIDIG_COMP_CNT: 0
	.section	.text._ZN12_GLOBAL__N_141elementwise_kernel_with_index_grid_strideIiZZZN2at6native17logspace_cuda_outERKN3c106ScalarES6_ldRNS1_6TensorEENKUlvE_clEvENKUlvE1_clEvEUllE_EEvT_T0_PN15function_traitsISD_E11result_typeE,"axG",@progbits,_ZN12_GLOBAL__N_141elementwise_kernel_with_index_grid_strideIiZZZN2at6native17logspace_cuda_outERKN3c106ScalarES6_ldRNS1_6TensorEENKUlvE_clEvENKUlvE1_clEvEUllE_EEvT_T0_PN15function_traitsISD_E11result_typeE,comdat
	.globl	_ZN12_GLOBAL__N_141elementwise_kernel_with_index_grid_strideIiZZZN2at6native17logspace_cuda_outERKN3c106ScalarES6_ldRNS1_6TensorEENKUlvE_clEvENKUlvE1_clEvEUllE_EEvT_T0_PN15function_traitsISD_E11result_typeE ; -- Begin function _ZN12_GLOBAL__N_141elementwise_kernel_with_index_grid_strideIiZZZN2at6native17logspace_cuda_outERKN3c106ScalarES6_ldRNS1_6TensorEENKUlvE_clEvENKUlvE1_clEvEUllE_EEvT_T0_PN15function_traitsISD_E11result_typeE
	.p2align	8
	.type	_ZN12_GLOBAL__N_141elementwise_kernel_with_index_grid_strideIiZZZN2at6native17logspace_cuda_outERKN3c106ScalarES6_ldRNS1_6TensorEENKUlvE_clEvENKUlvE1_clEvEUllE_EEvT_T0_PN15function_traitsISD_E11result_typeE,@function
_ZN12_GLOBAL__N_141elementwise_kernel_with_index_grid_strideIiZZZN2at6native17logspace_cuda_outERKN3c106ScalarES6_ldRNS1_6TensorEENKUlvE_clEvENKUlvE1_clEvEUllE_EEvT_T0_PN15function_traitsISD_E11result_typeE: ; @_ZN12_GLOBAL__N_141elementwise_kernel_with_index_grid_strideIiZZZN2at6native17logspace_cuda_outERKN3c106ScalarES6_ldRNS1_6TensorEENKUlvE_clEvENKUlvE1_clEvEUllE_EEvT_T0_PN15function_traitsISD_E11result_typeE
; %bb.0:
	s_clause 0x1
	s_load_dword s2, s[4:5], 0x44
	s_load_dword s3, s[4:5], 0x0
	s_add_u32 s0, s4, 56
	s_addc_u32 s1, s5, 0
	s_waitcnt lgkmcnt(0)
	s_and_b32 s2, s2, 0xffff
	v_mad_u64_u32 v[0:1], null, s6, s2, v[0:1]
	s_mov_b32 s6, exec_lo
	v_cmpx_gt_i32_e64 s3, v0
	s_cbranch_execz .LBB26_7
; %bb.1:
	s_load_dword s14, s[0:1], 0x0
	s_clause 0x4
	s_load_dwordx2 s[0:1], s[4:5], 0x8
	s_load_dword s12, s[4:5], 0x10
	s_load_dwordx2 s[6:7], s[4:5], 0x18
	s_load_dwordx4 s[8:11], s[4:5], 0x28
	s_load_dword s13, s[4:5], 0x20
	v_ashrrev_i32_e32 v1, 31, v0
	v_not_b32_e32 v2, v0
	v_lshlrev_b64 v[4:5], 2, v[0:1]
	v_not_b32_e32 v3, v1
	s_waitcnt lgkmcnt(0)
	s_mul_i32 s4, s14, s2
	v_cvt_f32_i32_e32 v6, s1
	v_cvt_f32_i32_e32 v7, s0
	v_add_co_u32 v2, vcc_lo, v2, s6
	v_add_co_ci_u32_e64 v3, null, s7, v3, vcc_lo
	v_add_co_u32 v4, vcc_lo, s10, v4
	v_cmp_eq_f32_e64 s14, s12, 1.0
	v_add_co_ci_u32_e64 v5, null, s11, v5, vcc_lo
	s_ashr_i32 s5, s4, 31
	s_mov_b32 s10, 0
	s_lshl_b64 s[6:7], s[4:5], 2
	s_mov_b32 s11, 0x3e76c4e1
	s_branch .LBB26_3
.LBB26_2:                               ;   in Loop: Header=BB26_3 Depth=1
	s_or_b32 exec_lo, exec_lo, s0
	v_cndmask_b32_e64 v10, v8, 1.0, s14
	v_cmp_neq_f32_e32 vcc_lo, 0, v10
	v_cmp_neq_f32_e64 s15, v10, |v10|
	v_cndmask_b32_e64 v11, 1.0, s12, vcc_lo
	v_frexp_mant_f32_e64 v8, |v11|
	v_cmp_lt_f32_e64 s16, |v11|, 1.0
	v_cmp_eq_f32_e64 s2, 0, v11
	v_cmp_gt_f32_e32 vcc_lo, 0x3f2aaaab, v8
	s_xor_b32 s15, s15, s16
	v_cndmask_b32_e64 v9, 1.0, 2.0, vcc_lo
	v_mul_f32_e32 v8, v8, v9
	v_add_f32_e32 v9, 1.0, v8
	v_add_f32_e32 v13, -1.0, v8
	v_rcp_f32_e32 v12, v9
	v_add_f32_e32 v15, -1.0, v9
	v_sub_f32_e32 v8, v8, v15
	v_mul_f32_e32 v14, v13, v12
	v_mul_f32_e32 v16, v9, v14
	v_fma_f32 v9, v14, v9, -v16
	v_fmac_f32_e32 v9, v14, v8
	v_add_f32_e32 v8, v16, v9
	v_sub_f32_e32 v15, v13, v8
	v_sub_f32_e32 v16, v8, v16
	;; [unrolled: 1-line block ×5, first 2 shown]
	v_add_f32_e32 v8, v9, v8
	v_add_f32_e32 v8, v15, v8
	v_mul_f32_e32 v8, v12, v8
	v_add_f32_e32 v12, v14, v8
	v_sub_f32_e32 v9, v12, v14
	v_mul_f32_e32 v13, v12, v12
	v_sub_f32_e32 v14, v8, v9
	v_fma_f32 v8, v12, v12, -v13
	v_add_f32_e32 v9, v14, v14
	v_fmac_f32_e32 v8, v12, v9
	v_add_f32_e32 v15, v13, v8
	v_fmaak_f32 v9, s11, v15, 0x3e91f4c4
	v_sub_f32_e32 v13, v15, v13
	v_mul_f32_e32 v20, v12, v15
	v_fmaak_f32 v9, v15, v9, 0x3ecccdef
	v_sub_f32_e32 v13, v8, v13
	v_fma_f32 v21, v15, v12, -v20
	v_mul_f32_e32 v16, v15, v9
	v_fmac_f32_e32 v21, v15, v14
	v_ldexp_f32 v14, v14, 1
	v_fma_f32 v17, v15, v9, -v16
	v_fmac_f32_e32 v21, v13, v12
	v_fmac_f32_e32 v17, v13, v9
	v_cvt_f64_f32_e64 v[8:9], |v11|
	v_add_f32_e32 v18, v16, v17
	v_sub_f32_e32 v16, v18, v16
	v_add_f32_e32 v19, 0x3f2aaaaa, v18
	v_sub_f32_e32 v16, v17, v16
	v_add_f32_e32 v17, 0xbf2aaaaa, v19
	v_add_f32_e32 v16, 0x31739010, v16
	v_sub_f32_e32 v17, v18, v17
	v_frexp_exp_i32_f64_e32 v8, v[8:9]
	v_add_f32_e32 v15, v16, v17
	v_add_f32_e32 v16, v20, v21
	;; [unrolled: 1-line block ×3, first 2 shown]
	v_sub_f32_e32 v18, v16, v20
	v_sub_f32_e32 v9, v19, v13
	v_mul_f32_e32 v17, v16, v13
	v_sub_f32_e32 v18, v21, v18
	v_add_f32_e32 v9, v15, v9
	v_fma_f32 v15, v16, v13, -v17
	v_subrev_co_ci_u32_e64 v8, null, 0, v8, vcc_lo
	v_fmac_f32_e32 v15, v16, v9
	v_ldexp_f32 v9, v12, 1
	v_cvt_f32_i32_e32 v8, v8
	v_fmac_f32_e32 v15, v18, v13
	v_add_f32_e32 v12, v17, v15
	v_add_f32_e32 v13, v9, v12
	v_sub_f32_e32 v16, v12, v17
	v_mul_f32_e32 v17, 0x3f317218, v8
	v_sub_f32_e32 v9, v13, v9
	v_sub_f32_e32 v15, v15, v16
	v_fma_f32 v16, 0x3f317218, v8, -v17
	v_sub_f32_e32 v9, v12, v9
	v_add_f32_e32 v12, v14, v15
	v_fmac_f32_e32 v16, 0xb102e308, v8
	v_add_f32_e32 v8, v12, v9
	v_add_f32_e32 v9, v17, v16
	;; [unrolled: 1-line block ×3, first 2 shown]
	v_sub_f32_e32 v17, v9, v17
	v_add_f32_e32 v14, v9, v12
	v_sub_f32_e32 v13, v12, v13
	v_sub_f32_e32 v16, v16, v17
	;; [unrolled: 1-line block ×6, first 2 shown]
	v_add_f32_e32 v13, v16, v8
	v_sub_f32_e32 v9, v9, v18
	v_add_f32_e32 v9, v12, v9
	v_sub_f32_e32 v12, v13, v16
	;; [unrolled: 2-line block ×3, first 2 shown]
	v_sub_f32_e32 v8, v8, v12
	v_add_f32_e32 v15, v14, v9
	v_sub_f32_e32 v12, v16, v13
	v_sub_f32_e32 v13, v15, v14
	v_add_f32_e32 v8, v8, v12
	v_sub_f32_e32 v9, v9, v13
	v_add_f32_e32 v8, v8, v9
	v_add_f32_e32 v9, v15, v8
	v_sub_f32_e32 v12, v9, v15
	v_mul_f32_e32 v13, v10, v9
	v_sub_f32_e32 v8, v8, v12
	v_fma_f32 v9, v10, v9, -v13
	v_cmp_class_f32_e64 vcc_lo, v13, 0x204
	v_fmac_f32_e32 v9, v10, v8
	v_add_f32_e32 v8, v13, v9
	v_cndmask_b32_e32 v12, v8, v13, vcc_lo
	v_sub_f32_e32 v8, v8, v13
	v_cmp_eq_f32_e32 vcc_lo, 0x42b17218, v12
	v_sub_f32_e32 v8, v9, v8
	v_cndmask_b32_e64 v14, 0, 0x37000000, vcc_lo
	v_cmp_neq_f32_e64 vcc_lo, 0x7f800000, |v12|
	v_sub_f32_e32 v15, v12, v14
	v_cndmask_b32_e32 v8, 0, v8, vcc_lo
	v_trunc_f32_e32 v12, v10
	v_mul_f32_e32 v16, 0x3fb8aa3b, v15
	v_cmp_ngt_f32_e32 vcc_lo, 0xc2ce8ed0, v15
	v_add_f32_e32 v8, v14, v8
	v_fma_f32 v17, 0x3fb8aa3b, v15, -v16
	v_rndne_f32_e32 v18, v16
	v_fmac_f32_e32 v17, 0x32a5705f, v15
	v_sub_f32_e32 v16, v16, v18
	v_cvt_i32_f32_e32 v13, v18
	v_add_f32_e32 v16, v16, v17
	v_exp_f32_e32 v16, v16
	v_ldexp_f32 v9, v16, v13
	v_mul_f32_e32 v13, 0.5, v10
	v_cndmask_b32_e32 v9, 0, v9, vcc_lo
	v_cmp_nlt_f32_e32 vcc_lo, 0x42b17218, v15
	v_trunc_f32_e32 v16, v13
	v_cndmask_b32_e32 v9, 0x7f800000, v9, vcc_lo
	v_cmp_eq_f32_e32 vcc_lo, v12, v10
	v_cmp_neq_f32_e64 s0, v16, v13
	v_fma_f32 v8, v9, v8, v9
	v_cmp_class_f32_e64 s1, v9, 0x204
	s_and_b32 s0, vcc_lo, s0
	v_cndmask_b32_e64 v12, 1.0, v11, s0
	v_cndmask_b32_e64 v14, 0, v11, s0
	v_cndmask_b32_e64 v8, v8, v9, s1
	;; [unrolled: 1-line block ×3, first 2 shown]
	v_cmp_gt_f32_e64 s1, 0, v10
	v_cmp_class_f32_e64 s0, v11, 0x204
	v_bfi_b32 v8, 0x7fffffff, v8, v12
	s_xor_b32 s1, s1, s2
	v_cndmask_b32_e64 v12, 0x7f800000, 0, s1
	v_cndmask_b32_e32 v13, 0x7fc00000, v8, vcc_lo
	v_cmp_neq_f32_e64 vcc_lo, |v11|, 1.0
	v_bfi_b32 v12, 0x7fffffff, v12, v14
	v_cndmask_b32_e32 v9, 1.0, v9, vcc_lo
	v_cmp_gt_f32_e32 vcc_lo, 0, v11
	v_cndmask_b32_e32 v8, v8, v13, vcc_lo
	v_cmp_class_f32_e64 vcc_lo, v10, 0x204
	v_cndmask_b32_e32 v8, v8, v9, vcc_lo
	s_or_b32 vcc_lo, s2, s0
	v_cndmask_b32_e32 v8, v8, v12, vcc_lo
	v_cmp_o_f32_e32 vcc_lo, v11, v10
	v_cndmask_b32_e32 v8, 0x7fc00000, v8, vcc_lo
	v_add_co_u32 v0, vcc_lo, v0, s4
	v_add_co_ci_u32_e64 v1, null, s5, v1, vcc_lo
	v_cvt_i32_f32_e32 v8, v8
	v_sub_co_u32 v2, vcc_lo, v2, s4
	v_subrev_co_ci_u32_e64 v3, null, s5, v3, vcc_lo
	v_cmp_le_i32_e32 vcc_lo, s3, v0
	global_store_dword v[4:5], v8, off
	v_add_co_u32 v4, s0, v4, s6
	v_add_co_ci_u32_e64 v5, null, s7, v5, s0
	s_or_b32 s10, vcc_lo, s10
	s_andn2_b32 exec_lo, exec_lo, s10
	s_cbranch_execz .LBB26_7
.LBB26_3:                               ; =>This Inner Loop Header: Depth=1
	s_mov_b32 s0, exec_lo
                                        ; implicit-def: $vgpr8
	v_cmpx_le_i64_e64 s[8:9], v[0:1]
	s_xor_b32 s0, exec_lo, s0
	s_cbranch_execz .LBB26_5
; %bb.4:                                ;   in Loop: Header=BB26_3 Depth=1
	v_xor_b32_e32 v8, v2, v3
	v_ffbh_i32_e32 v9, v3
	v_ashrrev_i32_e32 v8, 31, v8
	v_add_nc_u32_e32 v9, -1, v9
	v_add_nc_u32_e32 v8, 32, v8
	v_min_u32_e32 v10, v9, v8
	v_lshlrev_b64 v[8:9], v10, v[2:3]
	v_min_u32_e32 v8, 1, v8
	v_or_b32_e32 v8, v9, v8
	v_sub_nc_u32_e32 v9, 32, v10
	v_cvt_f32_i32_e32 v8, v8
	v_ldexp_f32 v8, v8, v9
	v_fma_f32 v8, -s13, v8, v6
.LBB26_5:                               ;   in Loop: Header=BB26_3 Depth=1
	s_andn2_saveexec_b32 s0, s0
	s_cbranch_execz .LBB26_2
; %bb.6:                                ;   in Loop: Header=BB26_3 Depth=1
	v_cvt_f32_i32_e32 v8, v0
	v_fma_f32 v8, s13, v8, v7
	s_branch .LBB26_2
.LBB26_7:
	s_endpgm
	.section	.rodata,"a",@progbits
	.p2align	6, 0x0
	.amdhsa_kernel _ZN12_GLOBAL__N_141elementwise_kernel_with_index_grid_strideIiZZZN2at6native17logspace_cuda_outERKN3c106ScalarES6_ldRNS1_6TensorEENKUlvE_clEvENKUlvE1_clEvEUllE_EEvT_T0_PN15function_traitsISD_E11result_typeE
		.amdhsa_group_segment_fixed_size 0
		.amdhsa_private_segment_fixed_size 0
		.amdhsa_kernarg_size 312
		.amdhsa_user_sgpr_count 6
		.amdhsa_user_sgpr_private_segment_buffer 1
		.amdhsa_user_sgpr_dispatch_ptr 0
		.amdhsa_user_sgpr_queue_ptr 0
		.amdhsa_user_sgpr_kernarg_segment_ptr 1
		.amdhsa_user_sgpr_dispatch_id 0
		.amdhsa_user_sgpr_flat_scratch_init 0
		.amdhsa_user_sgpr_private_segment_size 0
		.amdhsa_wavefront_size32 1
		.amdhsa_uses_dynamic_stack 0
		.amdhsa_system_sgpr_private_segment_wavefront_offset 0
		.amdhsa_system_sgpr_workgroup_id_x 1
		.amdhsa_system_sgpr_workgroup_id_y 0
		.amdhsa_system_sgpr_workgroup_id_z 0
		.amdhsa_system_sgpr_workgroup_info 0
		.amdhsa_system_vgpr_workitem_id 0
		.amdhsa_next_free_vgpr 22
		.amdhsa_next_free_sgpr 17
		.amdhsa_reserve_vcc 1
		.amdhsa_reserve_flat_scratch 0
		.amdhsa_float_round_mode_32 0
		.amdhsa_float_round_mode_16_64 0
		.amdhsa_float_denorm_mode_32 3
		.amdhsa_float_denorm_mode_16_64 3
		.amdhsa_dx10_clamp 1
		.amdhsa_ieee_mode 1
		.amdhsa_fp16_overflow 0
		.amdhsa_workgroup_processor_mode 1
		.amdhsa_memory_ordered 1
		.amdhsa_forward_progress 1
		.amdhsa_shared_vgpr_count 0
		.amdhsa_exception_fp_ieee_invalid_op 0
		.amdhsa_exception_fp_denorm_src 0
		.amdhsa_exception_fp_ieee_div_zero 0
		.amdhsa_exception_fp_ieee_overflow 0
		.amdhsa_exception_fp_ieee_underflow 0
		.amdhsa_exception_fp_ieee_inexact 0
		.amdhsa_exception_int_div_zero 0
	.end_amdhsa_kernel
	.section	.text._ZN12_GLOBAL__N_141elementwise_kernel_with_index_grid_strideIiZZZN2at6native17logspace_cuda_outERKN3c106ScalarES6_ldRNS1_6TensorEENKUlvE_clEvENKUlvE1_clEvEUllE_EEvT_T0_PN15function_traitsISD_E11result_typeE,"axG",@progbits,_ZN12_GLOBAL__N_141elementwise_kernel_with_index_grid_strideIiZZZN2at6native17logspace_cuda_outERKN3c106ScalarES6_ldRNS1_6TensorEENKUlvE_clEvENKUlvE1_clEvEUllE_EEvT_T0_PN15function_traitsISD_E11result_typeE,comdat
.Lfunc_end26:
	.size	_ZN12_GLOBAL__N_141elementwise_kernel_with_index_grid_strideIiZZZN2at6native17logspace_cuda_outERKN3c106ScalarES6_ldRNS1_6TensorEENKUlvE_clEvENKUlvE1_clEvEUllE_EEvT_T0_PN15function_traitsISD_E11result_typeE, .Lfunc_end26-_ZN12_GLOBAL__N_141elementwise_kernel_with_index_grid_strideIiZZZN2at6native17logspace_cuda_outERKN3c106ScalarES6_ldRNS1_6TensorEENKUlvE_clEvENKUlvE1_clEvEUllE_EEvT_T0_PN15function_traitsISD_E11result_typeE
                                        ; -- End function
	.set _ZN12_GLOBAL__N_141elementwise_kernel_with_index_grid_strideIiZZZN2at6native17logspace_cuda_outERKN3c106ScalarES6_ldRNS1_6TensorEENKUlvE_clEvENKUlvE1_clEvEUllE_EEvT_T0_PN15function_traitsISD_E11result_typeE.num_vgpr, 22
	.set _ZN12_GLOBAL__N_141elementwise_kernel_with_index_grid_strideIiZZZN2at6native17logspace_cuda_outERKN3c106ScalarES6_ldRNS1_6TensorEENKUlvE_clEvENKUlvE1_clEvEUllE_EEvT_T0_PN15function_traitsISD_E11result_typeE.num_agpr, 0
	.set _ZN12_GLOBAL__N_141elementwise_kernel_with_index_grid_strideIiZZZN2at6native17logspace_cuda_outERKN3c106ScalarES6_ldRNS1_6TensorEENKUlvE_clEvENKUlvE1_clEvEUllE_EEvT_T0_PN15function_traitsISD_E11result_typeE.numbered_sgpr, 17
	.set _ZN12_GLOBAL__N_141elementwise_kernel_with_index_grid_strideIiZZZN2at6native17logspace_cuda_outERKN3c106ScalarES6_ldRNS1_6TensorEENKUlvE_clEvENKUlvE1_clEvEUllE_EEvT_T0_PN15function_traitsISD_E11result_typeE.num_named_barrier, 0
	.set _ZN12_GLOBAL__N_141elementwise_kernel_with_index_grid_strideIiZZZN2at6native17logspace_cuda_outERKN3c106ScalarES6_ldRNS1_6TensorEENKUlvE_clEvENKUlvE1_clEvEUllE_EEvT_T0_PN15function_traitsISD_E11result_typeE.private_seg_size, 0
	.set _ZN12_GLOBAL__N_141elementwise_kernel_with_index_grid_strideIiZZZN2at6native17logspace_cuda_outERKN3c106ScalarES6_ldRNS1_6TensorEENKUlvE_clEvENKUlvE1_clEvEUllE_EEvT_T0_PN15function_traitsISD_E11result_typeE.uses_vcc, 1
	.set _ZN12_GLOBAL__N_141elementwise_kernel_with_index_grid_strideIiZZZN2at6native17logspace_cuda_outERKN3c106ScalarES6_ldRNS1_6TensorEENKUlvE_clEvENKUlvE1_clEvEUllE_EEvT_T0_PN15function_traitsISD_E11result_typeE.uses_flat_scratch, 0
	.set _ZN12_GLOBAL__N_141elementwise_kernel_with_index_grid_strideIiZZZN2at6native17logspace_cuda_outERKN3c106ScalarES6_ldRNS1_6TensorEENKUlvE_clEvENKUlvE1_clEvEUllE_EEvT_T0_PN15function_traitsISD_E11result_typeE.has_dyn_sized_stack, 0
	.set _ZN12_GLOBAL__N_141elementwise_kernel_with_index_grid_strideIiZZZN2at6native17logspace_cuda_outERKN3c106ScalarES6_ldRNS1_6TensorEENKUlvE_clEvENKUlvE1_clEvEUllE_EEvT_T0_PN15function_traitsISD_E11result_typeE.has_recursion, 0
	.set _ZN12_GLOBAL__N_141elementwise_kernel_with_index_grid_strideIiZZZN2at6native17logspace_cuda_outERKN3c106ScalarES6_ldRNS1_6TensorEENKUlvE_clEvENKUlvE1_clEvEUllE_EEvT_T0_PN15function_traitsISD_E11result_typeE.has_indirect_call, 0
	.section	.AMDGPU.csdata,"",@progbits
; Kernel info:
; codeLenInByte = 1328
; TotalNumSgprs: 19
; NumVgprs: 22
; ScratchSize: 0
; MemoryBound: 0
; FloatMode: 240
; IeeeMode: 1
; LDSByteSize: 0 bytes/workgroup (compile time only)
; SGPRBlocks: 0
; VGPRBlocks: 2
; NumSGPRsForWavesPerEU: 19
; NumVGPRsForWavesPerEU: 22
; Occupancy: 16
; WaveLimiterHint : 0
; COMPUTE_PGM_RSRC2:SCRATCH_EN: 0
; COMPUTE_PGM_RSRC2:USER_SGPR: 6
; COMPUTE_PGM_RSRC2:TRAP_HANDLER: 0
; COMPUTE_PGM_RSRC2:TGID_X_EN: 1
; COMPUTE_PGM_RSRC2:TGID_Y_EN: 0
; COMPUTE_PGM_RSRC2:TGID_Z_EN: 0
; COMPUTE_PGM_RSRC2:TIDIG_COMP_CNT: 0
	.section	.text._ZN12_GLOBAL__N_141elementwise_kernel_with_index_grid_strideIlZZZN2at6native17logspace_cuda_outERKN3c106ScalarES6_ldRNS1_6TensorEENKUlvE_clEvENKUlvE1_clEvEUllE_EEvT_T0_PN15function_traitsISD_E11result_typeE,"axG",@progbits,_ZN12_GLOBAL__N_141elementwise_kernel_with_index_grid_strideIlZZZN2at6native17logspace_cuda_outERKN3c106ScalarES6_ldRNS1_6TensorEENKUlvE_clEvENKUlvE1_clEvEUllE_EEvT_T0_PN15function_traitsISD_E11result_typeE,comdat
	.globl	_ZN12_GLOBAL__N_141elementwise_kernel_with_index_grid_strideIlZZZN2at6native17logspace_cuda_outERKN3c106ScalarES6_ldRNS1_6TensorEENKUlvE_clEvENKUlvE1_clEvEUllE_EEvT_T0_PN15function_traitsISD_E11result_typeE ; -- Begin function _ZN12_GLOBAL__N_141elementwise_kernel_with_index_grid_strideIlZZZN2at6native17logspace_cuda_outERKN3c106ScalarES6_ldRNS1_6TensorEENKUlvE_clEvENKUlvE1_clEvEUllE_EEvT_T0_PN15function_traitsISD_E11result_typeE
	.p2align	8
	.type	_ZN12_GLOBAL__N_141elementwise_kernel_with_index_grid_strideIlZZZN2at6native17logspace_cuda_outERKN3c106ScalarES6_ldRNS1_6TensorEENKUlvE_clEvENKUlvE1_clEvEUllE_EEvT_T0_PN15function_traitsISD_E11result_typeE,@function
_ZN12_GLOBAL__N_141elementwise_kernel_with_index_grid_strideIlZZZN2at6native17logspace_cuda_outERKN3c106ScalarES6_ldRNS1_6TensorEENKUlvE_clEvENKUlvE1_clEvEUllE_EEvT_T0_PN15function_traitsISD_E11result_typeE: ; @_ZN12_GLOBAL__N_141elementwise_kernel_with_index_grid_strideIlZZZN2at6native17logspace_cuda_outERKN3c106ScalarES6_ldRNS1_6TensorEENKUlvE_clEvENKUlvE1_clEvEUllE_EEvT_T0_PN15function_traitsISD_E11result_typeE
; %bb.0:
	s_clause 0x1
	s_load_dword s2, s[4:5], 0x44
	s_load_dwordx2 s[12:13], s[4:5], 0x0
	v_mov_b32_e32 v1, 0
	s_add_u32 s0, s4, 56
	s_addc_u32 s1, s5, 0
	s_mov_b32 s3, exec_lo
	s_waitcnt lgkmcnt(0)
	s_and_b32 s2, s2, 0xffff
	v_mad_u64_u32 v[0:1], null, s2, s6, v[0:1]
	v_cmpx_gt_i64_e64 s[12:13], v[0:1]
	s_cbranch_execz .LBB27_7
; %bb.1:
	s_load_dword s15, s[0:1], 0x0
	s_clause 0x4
	s_load_dwordx2 s[0:1], s[4:5], 0x8
	s_load_dword s3, s[4:5], 0x10
	s_load_dwordx2 s[6:7], s[4:5], 0x18
	s_load_dwordx4 s[8:11], s[4:5], 0x28
	s_load_dword s14, s[4:5], 0x20
	v_not_b32_e32 v2, v0
	v_lshlrev_b64 v[4:5], 2, v[0:1]
	v_not_b32_e32 v3, v1
	s_waitcnt lgkmcnt(0)
	s_mul_hi_u32 s5, s2, s15
	s_mul_i32 s4, s2, s15
	v_cvt_f32_i32_e32 v6, s1
	v_add_co_u32 v2, vcc_lo, v2, s6
	v_add_co_ci_u32_e64 v3, null, s7, v3, vcc_lo
	v_add_co_u32 v4, vcc_lo, s10, v4
	v_cvt_f32_i32_e32 v7, s0
	v_cmp_eq_f32_e64 s15, s3, 1.0
	v_add_co_ci_u32_e64 v5, null, s11, v5, vcc_lo
	s_mov_b32 s10, 0
	s_lshl_b64 s[6:7], s[4:5], 2
	s_mov_b32 s11, 0x3e76c4e1
	s_branch .LBB27_3
.LBB27_2:                               ;   in Loop: Header=BB27_3 Depth=1
	s_or_b32 exec_lo, exec_lo, s0
	v_cndmask_b32_e64 v10, v8, 1.0, s15
	v_cmp_neq_f32_e32 vcc_lo, 0, v10
	v_cmp_neq_f32_e64 s16, v10, |v10|
	v_cndmask_b32_e64 v11, 1.0, s3, vcc_lo
	v_frexp_mant_f32_e64 v8, |v11|
	v_cmp_lt_f32_e64 s17, |v11|, 1.0
	v_cmp_eq_f32_e64 s2, 0, v11
	v_cmp_gt_f32_e32 vcc_lo, 0x3f2aaaab, v8
	s_xor_b32 s16, s16, s17
	v_cndmask_b32_e64 v9, 1.0, 2.0, vcc_lo
	v_mul_f32_e32 v8, v8, v9
	v_add_f32_e32 v9, 1.0, v8
	v_add_f32_e32 v13, -1.0, v8
	v_rcp_f32_e32 v12, v9
	v_add_f32_e32 v15, -1.0, v9
	v_sub_f32_e32 v8, v8, v15
	v_mul_f32_e32 v14, v13, v12
	v_mul_f32_e32 v16, v9, v14
	v_fma_f32 v9, v14, v9, -v16
	v_fmac_f32_e32 v9, v14, v8
	v_add_f32_e32 v8, v16, v9
	v_sub_f32_e32 v15, v13, v8
	v_sub_f32_e32 v16, v8, v16
	;; [unrolled: 1-line block ×5, first 2 shown]
	v_add_f32_e32 v8, v9, v8
	v_add_f32_e32 v8, v15, v8
	v_mul_f32_e32 v8, v12, v8
	v_add_f32_e32 v12, v14, v8
	v_sub_f32_e32 v9, v12, v14
	v_mul_f32_e32 v13, v12, v12
	v_sub_f32_e32 v14, v8, v9
	v_fma_f32 v8, v12, v12, -v13
	v_add_f32_e32 v9, v14, v14
	v_fmac_f32_e32 v8, v12, v9
	v_add_f32_e32 v15, v13, v8
	v_fmaak_f32 v9, s11, v15, 0x3e91f4c4
	v_sub_f32_e32 v13, v15, v13
	v_mul_f32_e32 v20, v12, v15
	v_fmaak_f32 v9, v15, v9, 0x3ecccdef
	v_sub_f32_e32 v13, v8, v13
	v_fma_f32 v21, v15, v12, -v20
	v_mul_f32_e32 v16, v15, v9
	v_fmac_f32_e32 v21, v15, v14
	v_ldexp_f32 v14, v14, 1
	v_fma_f32 v17, v15, v9, -v16
	v_fmac_f32_e32 v21, v13, v12
	v_fmac_f32_e32 v17, v13, v9
	v_cvt_f64_f32_e64 v[8:9], |v11|
	v_add_f32_e32 v18, v16, v17
	v_sub_f32_e32 v16, v18, v16
	v_add_f32_e32 v19, 0x3f2aaaaa, v18
	v_sub_f32_e32 v16, v17, v16
	v_add_f32_e32 v17, 0xbf2aaaaa, v19
	v_add_f32_e32 v16, 0x31739010, v16
	v_sub_f32_e32 v17, v18, v17
	v_frexp_exp_i32_f64_e32 v8, v[8:9]
	v_add_f32_e32 v15, v16, v17
	v_add_f32_e32 v16, v20, v21
	;; [unrolled: 1-line block ×3, first 2 shown]
	v_sub_f32_e32 v18, v16, v20
	v_sub_f32_e32 v9, v19, v13
	v_mul_f32_e32 v17, v16, v13
	v_sub_f32_e32 v18, v21, v18
	v_add_f32_e32 v9, v15, v9
	v_fma_f32 v15, v16, v13, -v17
	v_subrev_co_ci_u32_e64 v8, null, 0, v8, vcc_lo
	v_fmac_f32_e32 v15, v16, v9
	v_ldexp_f32 v9, v12, 1
	v_cvt_f32_i32_e32 v8, v8
	v_fmac_f32_e32 v15, v18, v13
	v_add_f32_e32 v12, v17, v15
	v_add_f32_e32 v13, v9, v12
	v_sub_f32_e32 v16, v12, v17
	v_mul_f32_e32 v17, 0x3f317218, v8
	v_sub_f32_e32 v9, v13, v9
	v_sub_f32_e32 v15, v15, v16
	v_fma_f32 v16, 0x3f317218, v8, -v17
	v_sub_f32_e32 v9, v12, v9
	v_add_f32_e32 v12, v14, v15
	v_fmac_f32_e32 v16, 0xb102e308, v8
	v_add_f32_e32 v8, v12, v9
	v_add_f32_e32 v9, v17, v16
	;; [unrolled: 1-line block ×3, first 2 shown]
	v_sub_f32_e32 v17, v9, v17
	v_add_f32_e32 v14, v9, v12
	v_sub_f32_e32 v13, v12, v13
	v_sub_f32_e32 v16, v16, v17
	;; [unrolled: 1-line block ×6, first 2 shown]
	v_add_f32_e32 v13, v16, v8
	v_sub_f32_e32 v9, v9, v18
	v_add_f32_e32 v9, v12, v9
	v_sub_f32_e32 v12, v13, v16
	;; [unrolled: 2-line block ×3, first 2 shown]
	v_sub_f32_e32 v8, v8, v12
	v_add_f32_e32 v15, v14, v9
	v_sub_f32_e32 v12, v16, v13
	v_sub_f32_e32 v13, v15, v14
	v_add_f32_e32 v8, v8, v12
	v_sub_f32_e32 v9, v9, v13
	v_add_f32_e32 v8, v8, v9
	v_add_f32_e32 v9, v15, v8
	v_sub_f32_e32 v12, v9, v15
	v_mul_f32_e32 v13, v10, v9
	v_sub_f32_e32 v8, v8, v12
	v_fma_f32 v9, v10, v9, -v13
	v_cmp_class_f32_e64 vcc_lo, v13, 0x204
	v_fmac_f32_e32 v9, v10, v8
	v_add_f32_e32 v8, v13, v9
	v_cndmask_b32_e32 v12, v8, v13, vcc_lo
	v_sub_f32_e32 v8, v8, v13
	v_cmp_eq_f32_e32 vcc_lo, 0x42b17218, v12
	v_sub_f32_e32 v8, v9, v8
	v_cndmask_b32_e64 v14, 0, 0x37000000, vcc_lo
	v_cmp_neq_f32_e64 vcc_lo, 0x7f800000, |v12|
	v_sub_f32_e32 v15, v12, v14
	v_cndmask_b32_e32 v8, 0, v8, vcc_lo
	v_trunc_f32_e32 v12, v10
	v_mul_f32_e32 v16, 0x3fb8aa3b, v15
	v_cmp_ngt_f32_e32 vcc_lo, 0xc2ce8ed0, v15
	v_add_f32_e32 v8, v14, v8
	v_fma_f32 v17, 0x3fb8aa3b, v15, -v16
	v_rndne_f32_e32 v18, v16
	v_fmac_f32_e32 v17, 0x32a5705f, v15
	v_sub_f32_e32 v16, v16, v18
	v_cvt_i32_f32_e32 v13, v18
	v_add_f32_e32 v16, v16, v17
	v_exp_f32_e32 v16, v16
	v_ldexp_f32 v9, v16, v13
	v_mul_f32_e32 v13, 0.5, v10
	v_cndmask_b32_e32 v9, 0, v9, vcc_lo
	v_cmp_nlt_f32_e32 vcc_lo, 0x42b17218, v15
	v_trunc_f32_e32 v16, v13
	v_cndmask_b32_e32 v9, 0x7f800000, v9, vcc_lo
	v_cmp_eq_f32_e32 vcc_lo, v12, v10
	v_cmp_neq_f32_e64 s0, v16, v13
	v_fma_f32 v8, v9, v8, v9
	v_cmp_class_f32_e64 s1, v9, 0x204
	s_and_b32 s0, vcc_lo, s0
	v_cndmask_b32_e64 v12, 1.0, v11, s0
	v_cndmask_b32_e64 v14, 0, v11, s0
	v_cndmask_b32_e64 v8, v8, v9, s1
	v_cndmask_b32_e64 v9, 0x7f800000, 0, s16
	v_cmp_gt_f32_e64 s1, 0, v10
	v_cmp_class_f32_e64 s0, v11, 0x204
	v_bfi_b32 v8, 0x7fffffff, v8, v12
	s_xor_b32 s1, s1, s2
	v_cndmask_b32_e64 v12, 0x7f800000, 0, s1
	v_cndmask_b32_e32 v13, 0x7fc00000, v8, vcc_lo
	v_cmp_neq_f32_e64 vcc_lo, |v11|, 1.0
	v_bfi_b32 v12, 0x7fffffff, v12, v14
	v_cndmask_b32_e32 v9, 1.0, v9, vcc_lo
	v_cmp_gt_f32_e32 vcc_lo, 0, v11
	v_cndmask_b32_e32 v8, v8, v13, vcc_lo
	v_cmp_class_f32_e64 vcc_lo, v10, 0x204
	v_cndmask_b32_e32 v8, v8, v9, vcc_lo
	s_or_b32 vcc_lo, s2, s0
	v_cndmask_b32_e32 v8, v8, v12, vcc_lo
	v_cmp_o_f32_e32 vcc_lo, v11, v10
	v_cndmask_b32_e32 v8, 0x7fc00000, v8, vcc_lo
	v_add_co_u32 v0, vcc_lo, v0, s4
	v_add_co_ci_u32_e64 v1, null, s5, v1, vcc_lo
	v_cvt_i32_f32_e32 v8, v8
	v_sub_co_u32 v2, vcc_lo, v2, s4
	v_subrev_co_ci_u32_e64 v3, null, s5, v3, vcc_lo
	v_cmp_le_i64_e32 vcc_lo, s[12:13], v[0:1]
	global_store_dword v[4:5], v8, off
	v_add_co_u32 v4, s0, v4, s6
	v_add_co_ci_u32_e64 v5, null, s7, v5, s0
	s_or_b32 s10, vcc_lo, s10
	s_andn2_b32 exec_lo, exec_lo, s10
	s_cbranch_execz .LBB27_7
.LBB27_3:                               ; =>This Inner Loop Header: Depth=1
	s_mov_b32 s0, exec_lo
                                        ; implicit-def: $vgpr8
	v_cmpx_le_i64_e64 s[8:9], v[0:1]
	s_xor_b32 s0, exec_lo, s0
	s_cbranch_execz .LBB27_5
; %bb.4:                                ;   in Loop: Header=BB27_3 Depth=1
	v_xor_b32_e32 v8, v2, v3
	v_ffbh_i32_e32 v9, v3
	v_ashrrev_i32_e32 v8, 31, v8
	v_add_nc_u32_e32 v9, -1, v9
	v_add_nc_u32_e32 v8, 32, v8
	v_min_u32_e32 v10, v9, v8
	v_lshlrev_b64 v[8:9], v10, v[2:3]
	v_min_u32_e32 v8, 1, v8
	v_or_b32_e32 v8, v9, v8
	v_sub_nc_u32_e32 v9, 32, v10
	v_cvt_f32_i32_e32 v8, v8
	v_ldexp_f32 v8, v8, v9
	v_fma_f32 v8, -s14, v8, v6
.LBB27_5:                               ;   in Loop: Header=BB27_3 Depth=1
	s_andn2_saveexec_b32 s0, s0
	s_cbranch_execz .LBB27_2
; %bb.6:                                ;   in Loop: Header=BB27_3 Depth=1
	v_ffbh_u32_e32 v8, v1
	v_min_u32_e32 v10, 32, v8
	v_lshlrev_b64 v[8:9], v10, v[0:1]
	v_min_u32_e32 v8, 1, v8
	v_or_b32_e32 v8, v9, v8
	v_sub_nc_u32_e32 v9, 32, v10
	v_cvt_f32_u32_e32 v8, v8
	v_ldexp_f32 v8, v8, v9
	v_fma_f32 v8, s14, v8, v7
	s_branch .LBB27_2
.LBB27_7:
	s_endpgm
	.section	.rodata,"a",@progbits
	.p2align	6, 0x0
	.amdhsa_kernel _ZN12_GLOBAL__N_141elementwise_kernel_with_index_grid_strideIlZZZN2at6native17logspace_cuda_outERKN3c106ScalarES6_ldRNS1_6TensorEENKUlvE_clEvENKUlvE1_clEvEUllE_EEvT_T0_PN15function_traitsISD_E11result_typeE
		.amdhsa_group_segment_fixed_size 0
		.amdhsa_private_segment_fixed_size 0
		.amdhsa_kernarg_size 312
		.amdhsa_user_sgpr_count 6
		.amdhsa_user_sgpr_private_segment_buffer 1
		.amdhsa_user_sgpr_dispatch_ptr 0
		.amdhsa_user_sgpr_queue_ptr 0
		.amdhsa_user_sgpr_kernarg_segment_ptr 1
		.amdhsa_user_sgpr_dispatch_id 0
		.amdhsa_user_sgpr_flat_scratch_init 0
		.amdhsa_user_sgpr_private_segment_size 0
		.amdhsa_wavefront_size32 1
		.amdhsa_uses_dynamic_stack 0
		.amdhsa_system_sgpr_private_segment_wavefront_offset 0
		.amdhsa_system_sgpr_workgroup_id_x 1
		.amdhsa_system_sgpr_workgroup_id_y 0
		.amdhsa_system_sgpr_workgroup_id_z 0
		.amdhsa_system_sgpr_workgroup_info 0
		.amdhsa_system_vgpr_workitem_id 0
		.amdhsa_next_free_vgpr 22
		.amdhsa_next_free_sgpr 18
		.amdhsa_reserve_vcc 1
		.amdhsa_reserve_flat_scratch 0
		.amdhsa_float_round_mode_32 0
		.amdhsa_float_round_mode_16_64 0
		.amdhsa_float_denorm_mode_32 3
		.amdhsa_float_denorm_mode_16_64 3
		.amdhsa_dx10_clamp 1
		.amdhsa_ieee_mode 1
		.amdhsa_fp16_overflow 0
		.amdhsa_workgroup_processor_mode 1
		.amdhsa_memory_ordered 1
		.amdhsa_forward_progress 1
		.amdhsa_shared_vgpr_count 0
		.amdhsa_exception_fp_ieee_invalid_op 0
		.amdhsa_exception_fp_denorm_src 0
		.amdhsa_exception_fp_ieee_div_zero 0
		.amdhsa_exception_fp_ieee_overflow 0
		.amdhsa_exception_fp_ieee_underflow 0
		.amdhsa_exception_fp_ieee_inexact 0
		.amdhsa_exception_int_div_zero 0
	.end_amdhsa_kernel
	.section	.text._ZN12_GLOBAL__N_141elementwise_kernel_with_index_grid_strideIlZZZN2at6native17logspace_cuda_outERKN3c106ScalarES6_ldRNS1_6TensorEENKUlvE_clEvENKUlvE1_clEvEUllE_EEvT_T0_PN15function_traitsISD_E11result_typeE,"axG",@progbits,_ZN12_GLOBAL__N_141elementwise_kernel_with_index_grid_strideIlZZZN2at6native17logspace_cuda_outERKN3c106ScalarES6_ldRNS1_6TensorEENKUlvE_clEvENKUlvE1_clEvEUllE_EEvT_T0_PN15function_traitsISD_E11result_typeE,comdat
.Lfunc_end27:
	.size	_ZN12_GLOBAL__N_141elementwise_kernel_with_index_grid_strideIlZZZN2at6native17logspace_cuda_outERKN3c106ScalarES6_ldRNS1_6TensorEENKUlvE_clEvENKUlvE1_clEvEUllE_EEvT_T0_PN15function_traitsISD_E11result_typeE, .Lfunc_end27-_ZN12_GLOBAL__N_141elementwise_kernel_with_index_grid_strideIlZZZN2at6native17logspace_cuda_outERKN3c106ScalarES6_ldRNS1_6TensorEENKUlvE_clEvENKUlvE1_clEvEUllE_EEvT_T0_PN15function_traitsISD_E11result_typeE
                                        ; -- End function
	.set _ZN12_GLOBAL__N_141elementwise_kernel_with_index_grid_strideIlZZZN2at6native17logspace_cuda_outERKN3c106ScalarES6_ldRNS1_6TensorEENKUlvE_clEvENKUlvE1_clEvEUllE_EEvT_T0_PN15function_traitsISD_E11result_typeE.num_vgpr, 22
	.set _ZN12_GLOBAL__N_141elementwise_kernel_with_index_grid_strideIlZZZN2at6native17logspace_cuda_outERKN3c106ScalarES6_ldRNS1_6TensorEENKUlvE_clEvENKUlvE1_clEvEUllE_EEvT_T0_PN15function_traitsISD_E11result_typeE.num_agpr, 0
	.set _ZN12_GLOBAL__N_141elementwise_kernel_with_index_grid_strideIlZZZN2at6native17logspace_cuda_outERKN3c106ScalarES6_ldRNS1_6TensorEENKUlvE_clEvENKUlvE1_clEvEUllE_EEvT_T0_PN15function_traitsISD_E11result_typeE.numbered_sgpr, 18
	.set _ZN12_GLOBAL__N_141elementwise_kernel_with_index_grid_strideIlZZZN2at6native17logspace_cuda_outERKN3c106ScalarES6_ldRNS1_6TensorEENKUlvE_clEvENKUlvE1_clEvEUllE_EEvT_T0_PN15function_traitsISD_E11result_typeE.num_named_barrier, 0
	.set _ZN12_GLOBAL__N_141elementwise_kernel_with_index_grid_strideIlZZZN2at6native17logspace_cuda_outERKN3c106ScalarES6_ldRNS1_6TensorEENKUlvE_clEvENKUlvE1_clEvEUllE_EEvT_T0_PN15function_traitsISD_E11result_typeE.private_seg_size, 0
	.set _ZN12_GLOBAL__N_141elementwise_kernel_with_index_grid_strideIlZZZN2at6native17logspace_cuda_outERKN3c106ScalarES6_ldRNS1_6TensorEENKUlvE_clEvENKUlvE1_clEvEUllE_EEvT_T0_PN15function_traitsISD_E11result_typeE.uses_vcc, 1
	.set _ZN12_GLOBAL__N_141elementwise_kernel_with_index_grid_strideIlZZZN2at6native17logspace_cuda_outERKN3c106ScalarES6_ldRNS1_6TensorEENKUlvE_clEvENKUlvE1_clEvEUllE_EEvT_T0_PN15function_traitsISD_E11result_typeE.uses_flat_scratch, 0
	.set _ZN12_GLOBAL__N_141elementwise_kernel_with_index_grid_strideIlZZZN2at6native17logspace_cuda_outERKN3c106ScalarES6_ldRNS1_6TensorEENKUlvE_clEvENKUlvE1_clEvEUllE_EEvT_T0_PN15function_traitsISD_E11result_typeE.has_dyn_sized_stack, 0
	.set _ZN12_GLOBAL__N_141elementwise_kernel_with_index_grid_strideIlZZZN2at6native17logspace_cuda_outERKN3c106ScalarES6_ldRNS1_6TensorEENKUlvE_clEvENKUlvE1_clEvEUllE_EEvT_T0_PN15function_traitsISD_E11result_typeE.has_recursion, 0
	.set _ZN12_GLOBAL__N_141elementwise_kernel_with_index_grid_strideIlZZZN2at6native17logspace_cuda_outERKN3c106ScalarES6_ldRNS1_6TensorEENKUlvE_clEvENKUlvE1_clEvEUllE_EEvT_T0_PN15function_traitsISD_E11result_typeE.has_indirect_call, 0
	.section	.AMDGPU.csdata,"",@progbits
; Kernel info:
; codeLenInByte = 1364
; TotalNumSgprs: 20
; NumVgprs: 22
; ScratchSize: 0
; MemoryBound: 0
; FloatMode: 240
; IeeeMode: 1
; LDSByteSize: 0 bytes/workgroup (compile time only)
; SGPRBlocks: 0
; VGPRBlocks: 2
; NumSGPRsForWavesPerEU: 20
; NumVGPRsForWavesPerEU: 22
; Occupancy: 16
; WaveLimiterHint : 0
; COMPUTE_PGM_RSRC2:SCRATCH_EN: 0
; COMPUTE_PGM_RSRC2:USER_SGPR: 6
; COMPUTE_PGM_RSRC2:TRAP_HANDLER: 0
; COMPUTE_PGM_RSRC2:TGID_X_EN: 1
; COMPUTE_PGM_RSRC2:TGID_Y_EN: 0
; COMPUTE_PGM_RSRC2:TGID_Z_EN: 0
; COMPUTE_PGM_RSRC2:TIDIG_COMP_CNT: 0
	.section	.text._ZN12_GLOBAL__N_141elementwise_kernel_with_index_grid_strideIiZZZN2at6native17logspace_cuda_outERKN3c106ScalarES6_ldRNS1_6TensorEENKUlvE_clEvENKUlvE2_clEvEUllE_EEvT_T0_PN15function_traitsISD_E11result_typeE,"axG",@progbits,_ZN12_GLOBAL__N_141elementwise_kernel_with_index_grid_strideIiZZZN2at6native17logspace_cuda_outERKN3c106ScalarES6_ldRNS1_6TensorEENKUlvE_clEvENKUlvE2_clEvEUllE_EEvT_T0_PN15function_traitsISD_E11result_typeE,comdat
	.globl	_ZN12_GLOBAL__N_141elementwise_kernel_with_index_grid_strideIiZZZN2at6native17logspace_cuda_outERKN3c106ScalarES6_ldRNS1_6TensorEENKUlvE_clEvENKUlvE2_clEvEUllE_EEvT_T0_PN15function_traitsISD_E11result_typeE ; -- Begin function _ZN12_GLOBAL__N_141elementwise_kernel_with_index_grid_strideIiZZZN2at6native17logspace_cuda_outERKN3c106ScalarES6_ldRNS1_6TensorEENKUlvE_clEvENKUlvE2_clEvEUllE_EEvT_T0_PN15function_traitsISD_E11result_typeE
	.p2align	8
	.type	_ZN12_GLOBAL__N_141elementwise_kernel_with_index_grid_strideIiZZZN2at6native17logspace_cuda_outERKN3c106ScalarES6_ldRNS1_6TensorEENKUlvE_clEvENKUlvE2_clEvEUllE_EEvT_T0_PN15function_traitsISD_E11result_typeE,@function
_ZN12_GLOBAL__N_141elementwise_kernel_with_index_grid_strideIiZZZN2at6native17logspace_cuda_outERKN3c106ScalarES6_ldRNS1_6TensorEENKUlvE_clEvENKUlvE2_clEvEUllE_EEvT_T0_PN15function_traitsISD_E11result_typeE: ; @_ZN12_GLOBAL__N_141elementwise_kernel_with_index_grid_strideIiZZZN2at6native17logspace_cuda_outERKN3c106ScalarES6_ldRNS1_6TensorEENKUlvE_clEvENKUlvE2_clEvEUllE_EEvT_T0_PN15function_traitsISD_E11result_typeE
; %bb.0:
	s_clause 0x1
	s_load_dword s2, s[4:5], 0x4c
	s_load_dword s10, s[4:5], 0x0
	s_add_u32 s0, s4, 64
	s_addc_u32 s1, s5, 0
	s_waitcnt lgkmcnt(0)
	s_and_b32 s8, s2, 0xffff
	s_mov_b32 s2, exec_lo
	v_mad_u64_u32 v[0:1], null, s6, s8, v[0:1]
	v_cmpx_gt_i32_e64 s10, v0
	s_cbranch_execz .LBB28_7
; %bb.1:
	s_load_dword s9, s[0:1], 0x0
	s_clause 0x4
	s_load_dwordx4 s[0:3], s[4:5], 0x8
	s_load_dword s11, s[4:5], 0x18
	s_load_dwordx2 s[14:15], s[4:5], 0x20
	s_load_dword s12, s[4:5], 0x28
	s_load_dwordx4 s[4:7], s[4:5], 0x30
	v_ashrrev_i32_e32 v1, 31, v0
	v_not_b32_e32 v2, v0
	v_lshlrev_b64 v[4:5], 3, v[0:1]
	v_not_b32_e32 v3, v1
	s_waitcnt lgkmcnt(0)
	s_mul_i32 s8, s9, s8
	s_xor_b32 s16, s2, s3
	s_xor_b32 s18, s0, s1
	s_flbit_i32 s9, s3
	s_flbit_i32 s17, s1
	s_ashr_i32 s16, s16, 31
	s_ashr_i32 s18, s18, 31
	s_add_i32 s9, s9, -1
	s_add_i32 s17, s17, -1
	s_add_i32 s16, s16, 32
	s_add_i32 s18, s18, 32
	s_min_u32 s9, s9, s16
	s_min_u32 s16, s17, s18
	s_lshl_b64 s[2:3], s[2:3], s9
	s_lshl_b64 s[0:1], s[0:1], s16
	s_min_u32 s2, s2, 1
	s_min_u32 s0, s0, 1
	s_or_b32 s2, s3, s2
	s_or_b32 s0, s1, s0
	v_cvt_f32_i32_e32 v6, s2
	v_cvt_f32_i32_e32 v7, s0
	v_add_co_u32 v2, vcc_lo, v2, s14
	v_add_co_ci_u32_e64 v3, null, s15, v3, vcc_lo
	s_sub_i32 s0, 32, s9
	s_sub_i32 s1, 32, s16
	v_add_co_u32 v4, vcc_lo, s6, v4
	v_cmp_eq_f32_e64 s13, s11, 1.0
	v_ldexp_f32 v6, v6, s0
	v_ldexp_f32 v7, v7, s1
	v_add_co_ci_u32_e64 v5, null, s7, v5, vcc_lo
	s_ashr_i32 s9, s8, 31
	s_mov_b32 s3, 0
	s_lshl_b64 s[6:7], s[8:9], 3
	s_mov_b32 s14, 0x3e76c4e1
	s_branch .LBB28_3
.LBB28_2:                               ;   in Loop: Header=BB28_3 Depth=1
	s_or_b32 exec_lo, exec_lo, s0
	v_cndmask_b32_e64 v10, v8, 1.0, s13
	v_cmp_neq_f32_e32 vcc_lo, 0, v10
	v_cmp_neq_f32_e64 s15, v10, |v10|
	v_cndmask_b32_e64 v11, 1.0, s11, vcc_lo
	v_frexp_mant_f32_e64 v8, |v11|
	v_cmp_lt_f32_e64 s16, |v11|, 1.0
	v_cmp_eq_f32_e64 s2, 0, v11
	v_cmp_gt_f32_e32 vcc_lo, 0x3f2aaaab, v8
	s_xor_b32 s15, s15, s16
	v_cndmask_b32_e64 v9, 1.0, 2.0, vcc_lo
	v_mul_f32_e32 v8, v8, v9
	v_add_f32_e32 v9, 1.0, v8
	v_add_f32_e32 v13, -1.0, v8
	v_rcp_f32_e32 v12, v9
	v_add_f32_e32 v15, -1.0, v9
	v_sub_f32_e32 v8, v8, v15
	v_mul_f32_e32 v14, v13, v12
	v_mul_f32_e32 v16, v9, v14
	v_fma_f32 v9, v14, v9, -v16
	v_fmac_f32_e32 v9, v14, v8
	v_add_f32_e32 v8, v16, v9
	v_sub_f32_e32 v15, v13, v8
	v_sub_f32_e32 v16, v8, v16
	;; [unrolled: 1-line block ×5, first 2 shown]
	v_add_f32_e32 v8, v9, v8
	v_add_f32_e32 v8, v15, v8
	v_mul_f32_e32 v8, v12, v8
	v_add_f32_e32 v12, v14, v8
	v_sub_f32_e32 v9, v12, v14
	v_mul_f32_e32 v13, v12, v12
	v_sub_f32_e32 v14, v8, v9
	v_fma_f32 v8, v12, v12, -v13
	v_add_f32_e32 v9, v14, v14
	v_fmac_f32_e32 v8, v12, v9
	v_add_f32_e32 v15, v13, v8
	v_fmaak_f32 v9, s14, v15, 0x3e91f4c4
	v_sub_f32_e32 v13, v15, v13
	v_mul_f32_e32 v20, v12, v15
	v_fmaak_f32 v9, v15, v9, 0x3ecccdef
	v_sub_f32_e32 v13, v8, v13
	v_fma_f32 v21, v15, v12, -v20
	v_mul_f32_e32 v16, v15, v9
	v_fmac_f32_e32 v21, v15, v14
	v_ldexp_f32 v14, v14, 1
	v_fma_f32 v17, v15, v9, -v16
	v_fmac_f32_e32 v21, v13, v12
	v_fmac_f32_e32 v17, v13, v9
	v_cvt_f64_f32_e64 v[8:9], |v11|
	v_add_f32_e32 v18, v16, v17
	v_sub_f32_e32 v16, v18, v16
	v_add_f32_e32 v19, 0x3f2aaaaa, v18
	v_sub_f32_e32 v16, v17, v16
	v_add_f32_e32 v17, 0xbf2aaaaa, v19
	v_add_f32_e32 v16, 0x31739010, v16
	v_sub_f32_e32 v17, v18, v17
	v_frexp_exp_i32_f64_e32 v8, v[8:9]
	v_add_f32_e32 v15, v16, v17
	v_add_f32_e32 v16, v20, v21
	;; [unrolled: 1-line block ×3, first 2 shown]
	v_sub_f32_e32 v18, v16, v20
	v_sub_f32_e32 v9, v19, v13
	v_mul_f32_e32 v17, v16, v13
	v_sub_f32_e32 v18, v21, v18
	v_add_f32_e32 v9, v15, v9
	v_fma_f32 v15, v16, v13, -v17
	v_subrev_co_ci_u32_e64 v8, null, 0, v8, vcc_lo
	v_fmac_f32_e32 v15, v16, v9
	v_ldexp_f32 v9, v12, 1
	v_cvt_f32_i32_e32 v8, v8
	v_fmac_f32_e32 v15, v18, v13
	v_add_f32_e32 v12, v17, v15
	v_add_f32_e32 v13, v9, v12
	v_sub_f32_e32 v16, v12, v17
	v_mul_f32_e32 v17, 0x3f317218, v8
	v_sub_f32_e32 v9, v13, v9
	v_sub_f32_e32 v15, v15, v16
	v_fma_f32 v16, 0x3f317218, v8, -v17
	v_sub_f32_e32 v9, v12, v9
	v_add_f32_e32 v12, v14, v15
	v_fmac_f32_e32 v16, 0xb102e308, v8
	v_add_f32_e32 v8, v12, v9
	v_add_f32_e32 v9, v17, v16
	;; [unrolled: 1-line block ×3, first 2 shown]
	v_sub_f32_e32 v17, v9, v17
	v_add_f32_e32 v14, v9, v12
	v_sub_f32_e32 v13, v12, v13
	v_sub_f32_e32 v16, v16, v17
	v_sub_f32_e32 v15, v14, v9
	v_sub_f32_e32 v8, v8, v13
	v_sub_f32_e32 v18, v14, v15
	v_sub_f32_e32 v12, v12, v15
	v_add_f32_e32 v13, v16, v8
	v_sub_f32_e32 v9, v9, v18
	v_add_f32_e32 v9, v12, v9
	v_sub_f32_e32 v12, v13, v16
	;; [unrolled: 2-line block ×3, first 2 shown]
	v_sub_f32_e32 v8, v8, v12
	v_add_f32_e32 v15, v14, v9
	v_sub_f32_e32 v12, v16, v13
	v_sub_f32_e32 v13, v15, v14
	v_add_f32_e32 v8, v8, v12
	v_sub_f32_e32 v9, v9, v13
	v_add_f32_e32 v8, v8, v9
	v_add_f32_e32 v9, v15, v8
	v_sub_f32_e32 v12, v9, v15
	v_mul_f32_e32 v13, v10, v9
	v_sub_f32_e32 v8, v8, v12
	v_fma_f32 v9, v10, v9, -v13
	v_cmp_class_f32_e64 vcc_lo, v13, 0x204
	v_fmac_f32_e32 v9, v10, v8
	v_add_f32_e32 v8, v13, v9
	v_cndmask_b32_e32 v12, v8, v13, vcc_lo
	v_sub_f32_e32 v8, v8, v13
	v_cmp_eq_f32_e32 vcc_lo, 0x42b17218, v12
	v_sub_f32_e32 v8, v9, v8
	v_cndmask_b32_e64 v14, 0, 0x37000000, vcc_lo
	v_cmp_neq_f32_e64 vcc_lo, 0x7f800000, |v12|
	v_sub_f32_e32 v15, v12, v14
	v_cndmask_b32_e32 v8, 0, v8, vcc_lo
	v_trunc_f32_e32 v12, v10
	v_mul_f32_e32 v16, 0x3fb8aa3b, v15
	v_cmp_ngt_f32_e32 vcc_lo, 0xc2ce8ed0, v15
	v_add_f32_e32 v8, v14, v8
	v_fma_f32 v17, 0x3fb8aa3b, v15, -v16
	v_rndne_f32_e32 v18, v16
	v_fmac_f32_e32 v17, 0x32a5705f, v15
	v_sub_f32_e32 v16, v16, v18
	v_cvt_i32_f32_e32 v13, v18
	v_add_f32_e32 v16, v16, v17
	v_exp_f32_e32 v16, v16
	v_ldexp_f32 v9, v16, v13
	v_mul_f32_e32 v13, 0.5, v10
	v_cndmask_b32_e32 v9, 0, v9, vcc_lo
	v_cmp_nlt_f32_e32 vcc_lo, 0x42b17218, v15
	v_trunc_f32_e32 v16, v13
	v_cndmask_b32_e32 v9, 0x7f800000, v9, vcc_lo
	v_cmp_eq_f32_e32 vcc_lo, v12, v10
	v_cmp_neq_f32_e64 s0, v16, v13
	v_fma_f32 v8, v9, v8, v9
	v_cmp_class_f32_e64 s1, v9, 0x204
	s_and_b32 s0, vcc_lo, s0
	v_cndmask_b32_e64 v12, 1.0, v11, s0
	v_cndmask_b32_e64 v14, 0, v11, s0
	v_cndmask_b32_e64 v8, v8, v9, s1
	;; [unrolled: 1-line block ×3, first 2 shown]
	v_cmp_gt_f32_e64 s1, 0, v10
	v_cmp_class_f32_e64 s0, v11, 0x204
	v_bfi_b32 v8, 0x7fffffff, v8, v12
	s_xor_b32 s1, s1, s2
	v_cndmask_b32_e64 v12, 0x7f800000, 0, s1
	v_cndmask_b32_e32 v13, 0x7fc00000, v8, vcc_lo
	v_cmp_neq_f32_e64 vcc_lo, |v11|, 1.0
	v_bfi_b32 v12, 0x7fffffff, v12, v14
	v_cndmask_b32_e32 v9, 1.0, v9, vcc_lo
	v_cmp_gt_f32_e32 vcc_lo, 0, v11
	v_cndmask_b32_e32 v8, v8, v13, vcc_lo
	v_cmp_class_f32_e64 vcc_lo, v10, 0x204
	v_cndmask_b32_e32 v8, v8, v9, vcc_lo
	s_or_b32 vcc_lo, s2, s0
	v_cndmask_b32_e32 v8, v8, v12, vcc_lo
	v_cmp_o_f32_e32 vcc_lo, v11, v10
	v_cndmask_b32_e32 v8, 0x7fc00000, v8, vcc_lo
	v_add_co_u32 v0, vcc_lo, v0, s8
	v_add_co_ci_u32_e64 v1, null, s9, v1, vcc_lo
	v_trunc_f32_e32 v8, v8
	v_mul_f32_e64 v9, 0x2f800000, |v8|
	v_ashrrev_i32_e32 v11, 31, v8
	v_floor_f32_e32 v9, v9
	v_fma_f32 v10, 0xcf800000, v9, |v8|
	v_cvt_u32_f32_e32 v8, v9
	v_cvt_u32_f32_e32 v9, v10
	v_xor_b32_e32 v10, v8, v11
	v_xor_b32_e32 v8, v9, v11
	v_sub_co_u32 v8, vcc_lo, v8, v11
	v_sub_co_ci_u32_e64 v9, null, v10, v11, vcc_lo
	v_sub_co_u32 v2, vcc_lo, v2, s8
	v_subrev_co_ci_u32_e64 v3, null, s9, v3, vcc_lo
	v_cmp_le_i32_e32 vcc_lo, s10, v0
	global_store_dwordx2 v[4:5], v[8:9], off
	v_add_co_u32 v4, s0, v4, s6
	v_add_co_ci_u32_e64 v5, null, s7, v5, s0
	s_or_b32 s3, vcc_lo, s3
	s_andn2_b32 exec_lo, exec_lo, s3
	s_cbranch_execz .LBB28_7
.LBB28_3:                               ; =>This Inner Loop Header: Depth=1
	s_mov_b32 s0, exec_lo
                                        ; implicit-def: $vgpr8
	v_cmpx_le_i64_e64 s[4:5], v[0:1]
	s_xor_b32 s0, exec_lo, s0
	s_cbranch_execz .LBB28_5
; %bb.4:                                ;   in Loop: Header=BB28_3 Depth=1
	v_xor_b32_e32 v8, v2, v3
	v_ffbh_i32_e32 v9, v3
	v_ashrrev_i32_e32 v8, 31, v8
	v_add_nc_u32_e32 v9, -1, v9
	v_add_nc_u32_e32 v8, 32, v8
	v_min_u32_e32 v10, v9, v8
	v_lshlrev_b64 v[8:9], v10, v[2:3]
	v_min_u32_e32 v8, 1, v8
	v_or_b32_e32 v8, v9, v8
	v_sub_nc_u32_e32 v9, 32, v10
	v_cvt_f32_i32_e32 v8, v8
	v_ldexp_f32 v8, v8, v9
	v_fma_f32 v8, -s12, v8, v6
.LBB28_5:                               ;   in Loop: Header=BB28_3 Depth=1
	s_andn2_saveexec_b32 s0, s0
	s_cbranch_execz .LBB28_2
; %bb.6:                                ;   in Loop: Header=BB28_3 Depth=1
	v_cvt_f32_i32_e32 v8, v0
	v_fma_f32 v8, s12, v8, v7
	s_branch .LBB28_2
.LBB28_7:
	s_endpgm
	.section	.rodata,"a",@progbits
	.p2align	6, 0x0
	.amdhsa_kernel _ZN12_GLOBAL__N_141elementwise_kernel_with_index_grid_strideIiZZZN2at6native17logspace_cuda_outERKN3c106ScalarES6_ldRNS1_6TensorEENKUlvE_clEvENKUlvE2_clEvEUllE_EEvT_T0_PN15function_traitsISD_E11result_typeE
		.amdhsa_group_segment_fixed_size 0
		.amdhsa_private_segment_fixed_size 0
		.amdhsa_kernarg_size 320
		.amdhsa_user_sgpr_count 6
		.amdhsa_user_sgpr_private_segment_buffer 1
		.amdhsa_user_sgpr_dispatch_ptr 0
		.amdhsa_user_sgpr_queue_ptr 0
		.amdhsa_user_sgpr_kernarg_segment_ptr 1
		.amdhsa_user_sgpr_dispatch_id 0
		.amdhsa_user_sgpr_flat_scratch_init 0
		.amdhsa_user_sgpr_private_segment_size 0
		.amdhsa_wavefront_size32 1
		.amdhsa_uses_dynamic_stack 0
		.amdhsa_system_sgpr_private_segment_wavefront_offset 0
		.amdhsa_system_sgpr_workgroup_id_x 1
		.amdhsa_system_sgpr_workgroup_id_y 0
		.amdhsa_system_sgpr_workgroup_id_z 0
		.amdhsa_system_sgpr_workgroup_info 0
		.amdhsa_system_vgpr_workitem_id 0
		.amdhsa_next_free_vgpr 22
		.amdhsa_next_free_sgpr 19
		.amdhsa_reserve_vcc 1
		.amdhsa_reserve_flat_scratch 0
		.amdhsa_float_round_mode_32 0
		.amdhsa_float_round_mode_16_64 0
		.amdhsa_float_denorm_mode_32 3
		.amdhsa_float_denorm_mode_16_64 3
		.amdhsa_dx10_clamp 1
		.amdhsa_ieee_mode 1
		.amdhsa_fp16_overflow 0
		.amdhsa_workgroup_processor_mode 1
		.amdhsa_memory_ordered 1
		.amdhsa_forward_progress 1
		.amdhsa_shared_vgpr_count 0
		.amdhsa_exception_fp_ieee_invalid_op 0
		.amdhsa_exception_fp_denorm_src 0
		.amdhsa_exception_fp_ieee_div_zero 0
		.amdhsa_exception_fp_ieee_overflow 0
		.amdhsa_exception_fp_ieee_underflow 0
		.amdhsa_exception_fp_ieee_inexact 0
		.amdhsa_exception_int_div_zero 0
	.end_amdhsa_kernel
	.section	.text._ZN12_GLOBAL__N_141elementwise_kernel_with_index_grid_strideIiZZZN2at6native17logspace_cuda_outERKN3c106ScalarES6_ldRNS1_6TensorEENKUlvE_clEvENKUlvE2_clEvEUllE_EEvT_T0_PN15function_traitsISD_E11result_typeE,"axG",@progbits,_ZN12_GLOBAL__N_141elementwise_kernel_with_index_grid_strideIiZZZN2at6native17logspace_cuda_outERKN3c106ScalarES6_ldRNS1_6TensorEENKUlvE_clEvENKUlvE2_clEvEUllE_EEvT_T0_PN15function_traitsISD_E11result_typeE,comdat
.Lfunc_end28:
	.size	_ZN12_GLOBAL__N_141elementwise_kernel_with_index_grid_strideIiZZZN2at6native17logspace_cuda_outERKN3c106ScalarES6_ldRNS1_6TensorEENKUlvE_clEvENKUlvE2_clEvEUllE_EEvT_T0_PN15function_traitsISD_E11result_typeE, .Lfunc_end28-_ZN12_GLOBAL__N_141elementwise_kernel_with_index_grid_strideIiZZZN2at6native17logspace_cuda_outERKN3c106ScalarES6_ldRNS1_6TensorEENKUlvE_clEvENKUlvE2_clEvEUllE_EEvT_T0_PN15function_traitsISD_E11result_typeE
                                        ; -- End function
	.set _ZN12_GLOBAL__N_141elementwise_kernel_with_index_grid_strideIiZZZN2at6native17logspace_cuda_outERKN3c106ScalarES6_ldRNS1_6TensorEENKUlvE_clEvENKUlvE2_clEvEUllE_EEvT_T0_PN15function_traitsISD_E11result_typeE.num_vgpr, 22
	.set _ZN12_GLOBAL__N_141elementwise_kernel_with_index_grid_strideIiZZZN2at6native17logspace_cuda_outERKN3c106ScalarES6_ldRNS1_6TensorEENKUlvE_clEvENKUlvE2_clEvEUllE_EEvT_T0_PN15function_traitsISD_E11result_typeE.num_agpr, 0
	.set _ZN12_GLOBAL__N_141elementwise_kernel_with_index_grid_strideIiZZZN2at6native17logspace_cuda_outERKN3c106ScalarES6_ldRNS1_6TensorEENKUlvE_clEvENKUlvE2_clEvEUllE_EEvT_T0_PN15function_traitsISD_E11result_typeE.numbered_sgpr, 19
	.set _ZN12_GLOBAL__N_141elementwise_kernel_with_index_grid_strideIiZZZN2at6native17logspace_cuda_outERKN3c106ScalarES6_ldRNS1_6TensorEENKUlvE_clEvENKUlvE2_clEvEUllE_EEvT_T0_PN15function_traitsISD_E11result_typeE.num_named_barrier, 0
	.set _ZN12_GLOBAL__N_141elementwise_kernel_with_index_grid_strideIiZZZN2at6native17logspace_cuda_outERKN3c106ScalarES6_ldRNS1_6TensorEENKUlvE_clEvENKUlvE2_clEvEUllE_EEvT_T0_PN15function_traitsISD_E11result_typeE.private_seg_size, 0
	.set _ZN12_GLOBAL__N_141elementwise_kernel_with_index_grid_strideIiZZZN2at6native17logspace_cuda_outERKN3c106ScalarES6_ldRNS1_6TensorEENKUlvE_clEvENKUlvE2_clEvEUllE_EEvT_T0_PN15function_traitsISD_E11result_typeE.uses_vcc, 1
	.set _ZN12_GLOBAL__N_141elementwise_kernel_with_index_grid_strideIiZZZN2at6native17logspace_cuda_outERKN3c106ScalarES6_ldRNS1_6TensorEENKUlvE_clEvENKUlvE2_clEvEUllE_EEvT_T0_PN15function_traitsISD_E11result_typeE.uses_flat_scratch, 0
	.set _ZN12_GLOBAL__N_141elementwise_kernel_with_index_grid_strideIiZZZN2at6native17logspace_cuda_outERKN3c106ScalarES6_ldRNS1_6TensorEENKUlvE_clEvENKUlvE2_clEvEUllE_EEvT_T0_PN15function_traitsISD_E11result_typeE.has_dyn_sized_stack, 0
	.set _ZN12_GLOBAL__N_141elementwise_kernel_with_index_grid_strideIiZZZN2at6native17logspace_cuda_outERKN3c106ScalarES6_ldRNS1_6TensorEENKUlvE_clEvENKUlvE2_clEvEUllE_EEvT_T0_PN15function_traitsISD_E11result_typeE.has_recursion, 0
	.set _ZN12_GLOBAL__N_141elementwise_kernel_with_index_grid_strideIiZZZN2at6native17logspace_cuda_outERKN3c106ScalarES6_ldRNS1_6TensorEENKUlvE_clEvENKUlvE2_clEvEUllE_EEvT_T0_PN15function_traitsISD_E11result_typeE.has_indirect_call, 0
	.section	.AMDGPU.csdata,"",@progbits
; Kernel info:
; codeLenInByte = 1488
; TotalNumSgprs: 21
; NumVgprs: 22
; ScratchSize: 0
; MemoryBound: 0
; FloatMode: 240
; IeeeMode: 1
; LDSByteSize: 0 bytes/workgroup (compile time only)
; SGPRBlocks: 0
; VGPRBlocks: 2
; NumSGPRsForWavesPerEU: 21
; NumVGPRsForWavesPerEU: 22
; Occupancy: 16
; WaveLimiterHint : 0
; COMPUTE_PGM_RSRC2:SCRATCH_EN: 0
; COMPUTE_PGM_RSRC2:USER_SGPR: 6
; COMPUTE_PGM_RSRC2:TRAP_HANDLER: 0
; COMPUTE_PGM_RSRC2:TGID_X_EN: 1
; COMPUTE_PGM_RSRC2:TGID_Y_EN: 0
; COMPUTE_PGM_RSRC2:TGID_Z_EN: 0
; COMPUTE_PGM_RSRC2:TIDIG_COMP_CNT: 0
	.section	.text._ZN12_GLOBAL__N_141elementwise_kernel_with_index_grid_strideIlZZZN2at6native17logspace_cuda_outERKN3c106ScalarES6_ldRNS1_6TensorEENKUlvE_clEvENKUlvE2_clEvEUllE_EEvT_T0_PN15function_traitsISD_E11result_typeE,"axG",@progbits,_ZN12_GLOBAL__N_141elementwise_kernel_with_index_grid_strideIlZZZN2at6native17logspace_cuda_outERKN3c106ScalarES6_ldRNS1_6TensorEENKUlvE_clEvENKUlvE2_clEvEUllE_EEvT_T0_PN15function_traitsISD_E11result_typeE,comdat
	.globl	_ZN12_GLOBAL__N_141elementwise_kernel_with_index_grid_strideIlZZZN2at6native17logspace_cuda_outERKN3c106ScalarES6_ldRNS1_6TensorEENKUlvE_clEvENKUlvE2_clEvEUllE_EEvT_T0_PN15function_traitsISD_E11result_typeE ; -- Begin function _ZN12_GLOBAL__N_141elementwise_kernel_with_index_grid_strideIlZZZN2at6native17logspace_cuda_outERKN3c106ScalarES6_ldRNS1_6TensorEENKUlvE_clEvENKUlvE2_clEvEUllE_EEvT_T0_PN15function_traitsISD_E11result_typeE
	.p2align	8
	.type	_ZN12_GLOBAL__N_141elementwise_kernel_with_index_grid_strideIlZZZN2at6native17logspace_cuda_outERKN3c106ScalarES6_ldRNS1_6TensorEENKUlvE_clEvENKUlvE2_clEvEUllE_EEvT_T0_PN15function_traitsISD_E11result_typeE,@function
_ZN12_GLOBAL__N_141elementwise_kernel_with_index_grid_strideIlZZZN2at6native17logspace_cuda_outERKN3c106ScalarES6_ldRNS1_6TensorEENKUlvE_clEvENKUlvE2_clEvEUllE_EEvT_T0_PN15function_traitsISD_E11result_typeE: ; @_ZN12_GLOBAL__N_141elementwise_kernel_with_index_grid_strideIlZZZN2at6native17logspace_cuda_outERKN3c106ScalarES6_ldRNS1_6TensorEENKUlvE_clEvENKUlvE2_clEvEUllE_EEvT_T0_PN15function_traitsISD_E11result_typeE
; %bb.0:
	s_clause 0x1
	s_load_dword s2, s[4:5], 0x4c
	s_load_dwordx2 s[8:9], s[4:5], 0x0
	v_mov_b32_e32 v1, 0
	s_add_u32 s0, s4, 64
	s_addc_u32 s1, s5, 0
	s_waitcnt lgkmcnt(0)
	s_and_b32 s10, s2, 0xffff
	s_mov_b32 s2, exec_lo
	v_mad_u64_u32 v[0:1], null, s10, s6, v[0:1]
	v_cmpx_gt_i64_e64 s[8:9], v[0:1]
	s_cbranch_execz .LBB29_7
; %bb.1:
	s_load_dword s14, s[0:1], 0x0
	s_clause 0x4
	s_load_dwordx4 s[0:3], s[4:5], 0x8
	s_load_dword s12, s[4:5], 0x18
	s_load_dwordx2 s[16:17], s[4:5], 0x20
	s_load_dword s13, s[4:5], 0x28
	s_load_dwordx4 s[4:7], s[4:5], 0x30
	v_not_b32_e32 v2, v0
	v_lshlrev_b64 v[4:5], 3, v[0:1]
	v_not_b32_e32 v3, v1
	s_waitcnt lgkmcnt(0)
	s_mul_hi_u32 s11, s10, s14
	s_xor_b32 s18, s2, s3
	s_xor_b32 s20, s0, s1
	s_flbit_i32 s15, s3
	s_flbit_i32 s19, s1
	s_ashr_i32 s18, s18, 31
	s_ashr_i32 s20, s20, 31
	s_add_i32 s15, s15, -1
	s_add_i32 s19, s19, -1
	s_add_i32 s18, s18, 32
	s_add_i32 s20, s20, 32
	s_min_u32 s15, s15, s18
	s_min_u32 s18, s19, s20
	s_lshl_b64 s[2:3], s[2:3], s15
	s_lshl_b64 s[0:1], s[0:1], s18
	s_min_u32 s2, s2, 1
	s_min_u32 s0, s0, 1
	s_or_b32 s2, s3, s2
	s_or_b32 s0, s1, s0
	v_cvt_f32_i32_e32 v6, s2
	v_cvt_f32_i32_e32 v7, s0
	v_add_co_u32 v2, vcc_lo, v2, s16
	v_add_co_ci_u32_e64 v3, null, s17, v3, vcc_lo
	s_sub_i32 s0, 32, s15
	s_sub_i32 s1, 32, s18
	v_add_co_u32 v4, vcc_lo, s6, v4
	s_mul_i32 s10, s10, s14
	v_cmp_eq_f32_e64 s14, s12, 1.0
	v_ldexp_f32 v6, v6, s0
	v_ldexp_f32 v7, v7, s1
	v_add_co_ci_u32_e64 v5, null, s7, v5, vcc_lo
	s_mov_b32 s3, 0
	s_lshl_b64 s[6:7], s[10:11], 3
	s_mov_b32 s15, 0x3e76c4e1
	s_branch .LBB29_3
.LBB29_2:                               ;   in Loop: Header=BB29_3 Depth=1
	s_or_b32 exec_lo, exec_lo, s0
	v_cndmask_b32_e64 v10, v8, 1.0, s14
	v_cmp_neq_f32_e32 vcc_lo, 0, v10
	v_cmp_neq_f32_e64 s16, v10, |v10|
	v_cndmask_b32_e64 v11, 1.0, s12, vcc_lo
	v_frexp_mant_f32_e64 v8, |v11|
	v_cmp_lt_f32_e64 s17, |v11|, 1.0
	v_cmp_eq_f32_e64 s2, 0, v11
	v_cmp_gt_f32_e32 vcc_lo, 0x3f2aaaab, v8
	s_xor_b32 s16, s16, s17
	v_cndmask_b32_e64 v9, 1.0, 2.0, vcc_lo
	v_mul_f32_e32 v8, v8, v9
	v_add_f32_e32 v9, 1.0, v8
	v_add_f32_e32 v13, -1.0, v8
	v_rcp_f32_e32 v12, v9
	v_add_f32_e32 v15, -1.0, v9
	v_sub_f32_e32 v8, v8, v15
	v_mul_f32_e32 v14, v13, v12
	v_mul_f32_e32 v16, v9, v14
	v_fma_f32 v9, v14, v9, -v16
	v_fmac_f32_e32 v9, v14, v8
	v_add_f32_e32 v8, v16, v9
	v_sub_f32_e32 v15, v13, v8
	v_sub_f32_e32 v16, v8, v16
	;; [unrolled: 1-line block ×5, first 2 shown]
	v_add_f32_e32 v8, v9, v8
	v_add_f32_e32 v8, v15, v8
	v_mul_f32_e32 v8, v12, v8
	v_add_f32_e32 v12, v14, v8
	v_sub_f32_e32 v9, v12, v14
	v_mul_f32_e32 v13, v12, v12
	v_sub_f32_e32 v14, v8, v9
	v_fma_f32 v8, v12, v12, -v13
	v_add_f32_e32 v9, v14, v14
	v_fmac_f32_e32 v8, v12, v9
	v_add_f32_e32 v15, v13, v8
	v_fmaak_f32 v9, s15, v15, 0x3e91f4c4
	v_sub_f32_e32 v13, v15, v13
	v_mul_f32_e32 v20, v12, v15
	v_fmaak_f32 v9, v15, v9, 0x3ecccdef
	v_sub_f32_e32 v13, v8, v13
	v_fma_f32 v21, v15, v12, -v20
	v_mul_f32_e32 v16, v15, v9
	v_fmac_f32_e32 v21, v15, v14
	v_ldexp_f32 v14, v14, 1
	v_fma_f32 v17, v15, v9, -v16
	v_fmac_f32_e32 v21, v13, v12
	v_fmac_f32_e32 v17, v13, v9
	v_cvt_f64_f32_e64 v[8:9], |v11|
	v_add_f32_e32 v18, v16, v17
	v_sub_f32_e32 v16, v18, v16
	v_add_f32_e32 v19, 0x3f2aaaaa, v18
	v_sub_f32_e32 v16, v17, v16
	v_add_f32_e32 v17, 0xbf2aaaaa, v19
	v_add_f32_e32 v16, 0x31739010, v16
	v_sub_f32_e32 v17, v18, v17
	v_frexp_exp_i32_f64_e32 v8, v[8:9]
	v_add_f32_e32 v15, v16, v17
	v_add_f32_e32 v16, v20, v21
	v_add_f32_e32 v13, v19, v15
	v_sub_f32_e32 v18, v16, v20
	v_sub_f32_e32 v9, v19, v13
	v_mul_f32_e32 v17, v16, v13
	v_sub_f32_e32 v18, v21, v18
	v_add_f32_e32 v9, v15, v9
	v_fma_f32 v15, v16, v13, -v17
	v_subrev_co_ci_u32_e64 v8, null, 0, v8, vcc_lo
	v_fmac_f32_e32 v15, v16, v9
	v_ldexp_f32 v9, v12, 1
	v_cvt_f32_i32_e32 v8, v8
	v_fmac_f32_e32 v15, v18, v13
	v_add_f32_e32 v12, v17, v15
	v_add_f32_e32 v13, v9, v12
	v_sub_f32_e32 v16, v12, v17
	v_mul_f32_e32 v17, 0x3f317218, v8
	v_sub_f32_e32 v9, v13, v9
	v_sub_f32_e32 v15, v15, v16
	v_fma_f32 v16, 0x3f317218, v8, -v17
	v_sub_f32_e32 v9, v12, v9
	v_add_f32_e32 v12, v14, v15
	v_fmac_f32_e32 v16, 0xb102e308, v8
	v_add_f32_e32 v8, v12, v9
	v_add_f32_e32 v9, v17, v16
	;; [unrolled: 1-line block ×3, first 2 shown]
	v_sub_f32_e32 v17, v9, v17
	v_add_f32_e32 v14, v9, v12
	v_sub_f32_e32 v13, v12, v13
	v_sub_f32_e32 v16, v16, v17
	;; [unrolled: 1-line block ×6, first 2 shown]
	v_add_f32_e32 v13, v16, v8
	v_sub_f32_e32 v9, v9, v18
	v_add_f32_e32 v9, v12, v9
	v_sub_f32_e32 v12, v13, v16
	;; [unrolled: 2-line block ×3, first 2 shown]
	v_sub_f32_e32 v8, v8, v12
	v_add_f32_e32 v15, v14, v9
	v_sub_f32_e32 v12, v16, v13
	v_sub_f32_e32 v13, v15, v14
	v_add_f32_e32 v8, v8, v12
	v_sub_f32_e32 v9, v9, v13
	v_add_f32_e32 v8, v8, v9
	v_add_f32_e32 v9, v15, v8
	v_sub_f32_e32 v12, v9, v15
	v_mul_f32_e32 v13, v10, v9
	v_sub_f32_e32 v8, v8, v12
	v_fma_f32 v9, v10, v9, -v13
	v_cmp_class_f32_e64 vcc_lo, v13, 0x204
	v_fmac_f32_e32 v9, v10, v8
	v_add_f32_e32 v8, v13, v9
	v_cndmask_b32_e32 v12, v8, v13, vcc_lo
	v_sub_f32_e32 v8, v8, v13
	v_cmp_eq_f32_e32 vcc_lo, 0x42b17218, v12
	v_sub_f32_e32 v8, v9, v8
	v_cndmask_b32_e64 v14, 0, 0x37000000, vcc_lo
	v_cmp_neq_f32_e64 vcc_lo, 0x7f800000, |v12|
	v_sub_f32_e32 v15, v12, v14
	v_cndmask_b32_e32 v8, 0, v8, vcc_lo
	v_trunc_f32_e32 v12, v10
	v_mul_f32_e32 v16, 0x3fb8aa3b, v15
	v_cmp_ngt_f32_e32 vcc_lo, 0xc2ce8ed0, v15
	v_add_f32_e32 v8, v14, v8
	v_fma_f32 v17, 0x3fb8aa3b, v15, -v16
	v_rndne_f32_e32 v18, v16
	v_fmac_f32_e32 v17, 0x32a5705f, v15
	v_sub_f32_e32 v16, v16, v18
	v_cvt_i32_f32_e32 v13, v18
	v_add_f32_e32 v16, v16, v17
	v_exp_f32_e32 v16, v16
	v_ldexp_f32 v9, v16, v13
	v_mul_f32_e32 v13, 0.5, v10
	v_cndmask_b32_e32 v9, 0, v9, vcc_lo
	v_cmp_nlt_f32_e32 vcc_lo, 0x42b17218, v15
	v_trunc_f32_e32 v16, v13
	v_cndmask_b32_e32 v9, 0x7f800000, v9, vcc_lo
	v_cmp_eq_f32_e32 vcc_lo, v12, v10
	v_cmp_neq_f32_e64 s0, v16, v13
	v_fma_f32 v8, v9, v8, v9
	v_cmp_class_f32_e64 s1, v9, 0x204
	s_and_b32 s0, vcc_lo, s0
	v_cndmask_b32_e64 v12, 1.0, v11, s0
	v_cndmask_b32_e64 v14, 0, v11, s0
	v_cndmask_b32_e64 v8, v8, v9, s1
	;; [unrolled: 1-line block ×3, first 2 shown]
	v_cmp_gt_f32_e64 s1, 0, v10
	v_cmp_class_f32_e64 s0, v11, 0x204
	v_bfi_b32 v8, 0x7fffffff, v8, v12
	s_xor_b32 s1, s1, s2
	v_cndmask_b32_e64 v12, 0x7f800000, 0, s1
	v_cndmask_b32_e32 v13, 0x7fc00000, v8, vcc_lo
	v_cmp_neq_f32_e64 vcc_lo, |v11|, 1.0
	v_bfi_b32 v12, 0x7fffffff, v12, v14
	v_cndmask_b32_e32 v9, 1.0, v9, vcc_lo
	v_cmp_gt_f32_e32 vcc_lo, 0, v11
	v_cndmask_b32_e32 v8, v8, v13, vcc_lo
	v_cmp_class_f32_e64 vcc_lo, v10, 0x204
	v_cndmask_b32_e32 v8, v8, v9, vcc_lo
	s_or_b32 vcc_lo, s2, s0
	v_cndmask_b32_e32 v8, v8, v12, vcc_lo
	v_cmp_o_f32_e32 vcc_lo, v11, v10
	v_cndmask_b32_e32 v8, 0x7fc00000, v8, vcc_lo
	v_add_co_u32 v0, vcc_lo, v0, s10
	v_add_co_ci_u32_e64 v1, null, s11, v1, vcc_lo
	v_trunc_f32_e32 v8, v8
	v_mul_f32_e64 v9, 0x2f800000, |v8|
	v_ashrrev_i32_e32 v11, 31, v8
	v_floor_f32_e32 v9, v9
	v_fma_f32 v10, 0xcf800000, v9, |v8|
	v_cvt_u32_f32_e32 v8, v9
	v_cvt_u32_f32_e32 v9, v10
	v_xor_b32_e32 v10, v8, v11
	v_xor_b32_e32 v8, v9, v11
	v_sub_co_u32 v8, vcc_lo, v8, v11
	v_sub_co_ci_u32_e64 v9, null, v10, v11, vcc_lo
	v_sub_co_u32 v2, vcc_lo, v2, s10
	v_subrev_co_ci_u32_e64 v3, null, s11, v3, vcc_lo
	v_cmp_le_i64_e32 vcc_lo, s[8:9], v[0:1]
	global_store_dwordx2 v[4:5], v[8:9], off
	v_add_co_u32 v4, s0, v4, s6
	v_add_co_ci_u32_e64 v5, null, s7, v5, s0
	s_or_b32 s3, vcc_lo, s3
	s_andn2_b32 exec_lo, exec_lo, s3
	s_cbranch_execz .LBB29_7
.LBB29_3:                               ; =>This Inner Loop Header: Depth=1
	s_mov_b32 s0, exec_lo
                                        ; implicit-def: $vgpr8
	v_cmpx_le_i64_e64 s[4:5], v[0:1]
	s_xor_b32 s0, exec_lo, s0
	s_cbranch_execz .LBB29_5
; %bb.4:                                ;   in Loop: Header=BB29_3 Depth=1
	v_xor_b32_e32 v8, v2, v3
	v_ffbh_i32_e32 v9, v3
	v_ashrrev_i32_e32 v8, 31, v8
	v_add_nc_u32_e32 v9, -1, v9
	v_add_nc_u32_e32 v8, 32, v8
	v_min_u32_e32 v10, v9, v8
	v_lshlrev_b64 v[8:9], v10, v[2:3]
	v_min_u32_e32 v8, 1, v8
	v_or_b32_e32 v8, v9, v8
	v_sub_nc_u32_e32 v9, 32, v10
	v_cvt_f32_i32_e32 v8, v8
	v_ldexp_f32 v8, v8, v9
	v_fma_f32 v8, -s13, v8, v6
.LBB29_5:                               ;   in Loop: Header=BB29_3 Depth=1
	s_andn2_saveexec_b32 s0, s0
	s_cbranch_execz .LBB29_2
; %bb.6:                                ;   in Loop: Header=BB29_3 Depth=1
	v_ffbh_u32_e32 v8, v1
	v_min_u32_e32 v10, 32, v8
	v_lshlrev_b64 v[8:9], v10, v[0:1]
	v_min_u32_e32 v8, 1, v8
	v_or_b32_e32 v8, v9, v8
	v_sub_nc_u32_e32 v9, 32, v10
	v_cvt_f32_u32_e32 v8, v8
	v_ldexp_f32 v8, v8, v9
	v_fma_f32 v8, s13, v8, v7
	s_branch .LBB29_2
.LBB29_7:
	s_endpgm
	.section	.rodata,"a",@progbits
	.p2align	6, 0x0
	.amdhsa_kernel _ZN12_GLOBAL__N_141elementwise_kernel_with_index_grid_strideIlZZZN2at6native17logspace_cuda_outERKN3c106ScalarES6_ldRNS1_6TensorEENKUlvE_clEvENKUlvE2_clEvEUllE_EEvT_T0_PN15function_traitsISD_E11result_typeE
		.amdhsa_group_segment_fixed_size 0
		.amdhsa_private_segment_fixed_size 0
		.amdhsa_kernarg_size 320
		.amdhsa_user_sgpr_count 6
		.amdhsa_user_sgpr_private_segment_buffer 1
		.amdhsa_user_sgpr_dispatch_ptr 0
		.amdhsa_user_sgpr_queue_ptr 0
		.amdhsa_user_sgpr_kernarg_segment_ptr 1
		.amdhsa_user_sgpr_dispatch_id 0
		.amdhsa_user_sgpr_flat_scratch_init 0
		.amdhsa_user_sgpr_private_segment_size 0
		.amdhsa_wavefront_size32 1
		.amdhsa_uses_dynamic_stack 0
		.amdhsa_system_sgpr_private_segment_wavefront_offset 0
		.amdhsa_system_sgpr_workgroup_id_x 1
		.amdhsa_system_sgpr_workgroup_id_y 0
		.amdhsa_system_sgpr_workgroup_id_z 0
		.amdhsa_system_sgpr_workgroup_info 0
		.amdhsa_system_vgpr_workitem_id 0
		.amdhsa_next_free_vgpr 22
		.amdhsa_next_free_sgpr 21
		.amdhsa_reserve_vcc 1
		.amdhsa_reserve_flat_scratch 0
		.amdhsa_float_round_mode_32 0
		.amdhsa_float_round_mode_16_64 0
		.amdhsa_float_denorm_mode_32 3
		.amdhsa_float_denorm_mode_16_64 3
		.amdhsa_dx10_clamp 1
		.amdhsa_ieee_mode 1
		.amdhsa_fp16_overflow 0
		.amdhsa_workgroup_processor_mode 1
		.amdhsa_memory_ordered 1
		.amdhsa_forward_progress 1
		.amdhsa_shared_vgpr_count 0
		.amdhsa_exception_fp_ieee_invalid_op 0
		.amdhsa_exception_fp_denorm_src 0
		.amdhsa_exception_fp_ieee_div_zero 0
		.amdhsa_exception_fp_ieee_overflow 0
		.amdhsa_exception_fp_ieee_underflow 0
		.amdhsa_exception_fp_ieee_inexact 0
		.amdhsa_exception_int_div_zero 0
	.end_amdhsa_kernel
	.section	.text._ZN12_GLOBAL__N_141elementwise_kernel_with_index_grid_strideIlZZZN2at6native17logspace_cuda_outERKN3c106ScalarES6_ldRNS1_6TensorEENKUlvE_clEvENKUlvE2_clEvEUllE_EEvT_T0_PN15function_traitsISD_E11result_typeE,"axG",@progbits,_ZN12_GLOBAL__N_141elementwise_kernel_with_index_grid_strideIlZZZN2at6native17logspace_cuda_outERKN3c106ScalarES6_ldRNS1_6TensorEENKUlvE_clEvENKUlvE2_clEvEUllE_EEvT_T0_PN15function_traitsISD_E11result_typeE,comdat
.Lfunc_end29:
	.size	_ZN12_GLOBAL__N_141elementwise_kernel_with_index_grid_strideIlZZZN2at6native17logspace_cuda_outERKN3c106ScalarES6_ldRNS1_6TensorEENKUlvE_clEvENKUlvE2_clEvEUllE_EEvT_T0_PN15function_traitsISD_E11result_typeE, .Lfunc_end29-_ZN12_GLOBAL__N_141elementwise_kernel_with_index_grid_strideIlZZZN2at6native17logspace_cuda_outERKN3c106ScalarES6_ldRNS1_6TensorEENKUlvE_clEvENKUlvE2_clEvEUllE_EEvT_T0_PN15function_traitsISD_E11result_typeE
                                        ; -- End function
	.set _ZN12_GLOBAL__N_141elementwise_kernel_with_index_grid_strideIlZZZN2at6native17logspace_cuda_outERKN3c106ScalarES6_ldRNS1_6TensorEENKUlvE_clEvENKUlvE2_clEvEUllE_EEvT_T0_PN15function_traitsISD_E11result_typeE.num_vgpr, 22
	.set _ZN12_GLOBAL__N_141elementwise_kernel_with_index_grid_strideIlZZZN2at6native17logspace_cuda_outERKN3c106ScalarES6_ldRNS1_6TensorEENKUlvE_clEvENKUlvE2_clEvEUllE_EEvT_T0_PN15function_traitsISD_E11result_typeE.num_agpr, 0
	.set _ZN12_GLOBAL__N_141elementwise_kernel_with_index_grid_strideIlZZZN2at6native17logspace_cuda_outERKN3c106ScalarES6_ldRNS1_6TensorEENKUlvE_clEvENKUlvE2_clEvEUllE_EEvT_T0_PN15function_traitsISD_E11result_typeE.numbered_sgpr, 21
	.set _ZN12_GLOBAL__N_141elementwise_kernel_with_index_grid_strideIlZZZN2at6native17logspace_cuda_outERKN3c106ScalarES6_ldRNS1_6TensorEENKUlvE_clEvENKUlvE2_clEvEUllE_EEvT_T0_PN15function_traitsISD_E11result_typeE.num_named_barrier, 0
	.set _ZN12_GLOBAL__N_141elementwise_kernel_with_index_grid_strideIlZZZN2at6native17logspace_cuda_outERKN3c106ScalarES6_ldRNS1_6TensorEENKUlvE_clEvENKUlvE2_clEvEUllE_EEvT_T0_PN15function_traitsISD_E11result_typeE.private_seg_size, 0
	.set _ZN12_GLOBAL__N_141elementwise_kernel_with_index_grid_strideIlZZZN2at6native17logspace_cuda_outERKN3c106ScalarES6_ldRNS1_6TensorEENKUlvE_clEvENKUlvE2_clEvEUllE_EEvT_T0_PN15function_traitsISD_E11result_typeE.uses_vcc, 1
	.set _ZN12_GLOBAL__N_141elementwise_kernel_with_index_grid_strideIlZZZN2at6native17logspace_cuda_outERKN3c106ScalarES6_ldRNS1_6TensorEENKUlvE_clEvENKUlvE2_clEvEUllE_EEvT_T0_PN15function_traitsISD_E11result_typeE.uses_flat_scratch, 0
	.set _ZN12_GLOBAL__N_141elementwise_kernel_with_index_grid_strideIlZZZN2at6native17logspace_cuda_outERKN3c106ScalarES6_ldRNS1_6TensorEENKUlvE_clEvENKUlvE2_clEvEUllE_EEvT_T0_PN15function_traitsISD_E11result_typeE.has_dyn_sized_stack, 0
	.set _ZN12_GLOBAL__N_141elementwise_kernel_with_index_grid_strideIlZZZN2at6native17logspace_cuda_outERKN3c106ScalarES6_ldRNS1_6TensorEENKUlvE_clEvENKUlvE2_clEvEUllE_EEvT_T0_PN15function_traitsISD_E11result_typeE.has_recursion, 0
	.set _ZN12_GLOBAL__N_141elementwise_kernel_with_index_grid_strideIlZZZN2at6native17logspace_cuda_outERKN3c106ScalarES6_ldRNS1_6TensorEENKUlvE_clEvENKUlvE2_clEvEUllE_EEvT_T0_PN15function_traitsISD_E11result_typeE.has_indirect_call, 0
	.section	.AMDGPU.csdata,"",@progbits
; Kernel info:
; codeLenInByte = 1524
; TotalNumSgprs: 23
; NumVgprs: 22
; ScratchSize: 0
; MemoryBound: 0
; FloatMode: 240
; IeeeMode: 1
; LDSByteSize: 0 bytes/workgroup (compile time only)
; SGPRBlocks: 0
; VGPRBlocks: 2
; NumSGPRsForWavesPerEU: 23
; NumVGPRsForWavesPerEU: 22
; Occupancy: 16
; WaveLimiterHint : 0
; COMPUTE_PGM_RSRC2:SCRATCH_EN: 0
; COMPUTE_PGM_RSRC2:USER_SGPR: 6
; COMPUTE_PGM_RSRC2:TRAP_HANDLER: 0
; COMPUTE_PGM_RSRC2:TGID_X_EN: 1
; COMPUTE_PGM_RSRC2:TGID_Y_EN: 0
; COMPUTE_PGM_RSRC2:TGID_Z_EN: 0
; COMPUTE_PGM_RSRC2:TIDIG_COMP_CNT: 0
	.section	.text._ZN12_GLOBAL__N_141elementwise_kernel_with_index_grid_strideIiZZZN2at6native17logspace_cuda_outERKN3c106ScalarES6_ldRNS1_6TensorEENKUlvE_clEvENKUlvE3_clEvEUllE_EEvT_T0_PN15function_traitsISD_E11result_typeE,"axG",@progbits,_ZN12_GLOBAL__N_141elementwise_kernel_with_index_grid_strideIiZZZN2at6native17logspace_cuda_outERKN3c106ScalarES6_ldRNS1_6TensorEENKUlvE_clEvENKUlvE3_clEvEUllE_EEvT_T0_PN15function_traitsISD_E11result_typeE,comdat
	.globl	_ZN12_GLOBAL__N_141elementwise_kernel_with_index_grid_strideIiZZZN2at6native17logspace_cuda_outERKN3c106ScalarES6_ldRNS1_6TensorEENKUlvE_clEvENKUlvE3_clEvEUllE_EEvT_T0_PN15function_traitsISD_E11result_typeE ; -- Begin function _ZN12_GLOBAL__N_141elementwise_kernel_with_index_grid_strideIiZZZN2at6native17logspace_cuda_outERKN3c106ScalarES6_ldRNS1_6TensorEENKUlvE_clEvENKUlvE3_clEvEUllE_EEvT_T0_PN15function_traitsISD_E11result_typeE
	.p2align	8
	.type	_ZN12_GLOBAL__N_141elementwise_kernel_with_index_grid_strideIiZZZN2at6native17logspace_cuda_outERKN3c106ScalarES6_ldRNS1_6TensorEENKUlvE_clEvENKUlvE3_clEvEUllE_EEvT_T0_PN15function_traitsISD_E11result_typeE,@function
_ZN12_GLOBAL__N_141elementwise_kernel_with_index_grid_strideIiZZZN2at6native17logspace_cuda_outERKN3c106ScalarES6_ldRNS1_6TensorEENKUlvE_clEvENKUlvE3_clEvEUllE_EEvT_T0_PN15function_traitsISD_E11result_typeE: ; @_ZN12_GLOBAL__N_141elementwise_kernel_with_index_grid_strideIiZZZN2at6native17logspace_cuda_outERKN3c106ScalarES6_ldRNS1_6TensorEENKUlvE_clEvENKUlvE3_clEvEUllE_EEvT_T0_PN15function_traitsISD_E11result_typeE
; %bb.0:
	s_clause 0x1
	s_load_dword s2, s[4:5], 0x3c
	s_load_dword s3, s[4:5], 0x0
	s_add_u32 s0, s4, 48
	s_addc_u32 s1, s5, 0
	s_waitcnt lgkmcnt(0)
	s_and_b32 s2, s2, 0xffff
	v_mad_u64_u32 v[0:1], null, s6, s2, v[0:1]
	s_mov_b32 s6, exec_lo
	v_cmpx_gt_i32_e64 s3, v0
	s_cbranch_execz .LBB30_7
; %bb.1:
	s_load_dword s0, s[0:1], 0x0
	s_clause 0x2
	s_load_dwordx4 s[8:11], s[4:5], 0x8
	s_load_dwordx4 s[12:15], s[4:5], 0x20
	s_load_dword s16, s[4:5], 0x18
	v_ashrrev_i32_e32 v1, 31, v0
	v_not_b32_e32 v2, v0
	v_lshlrev_b64 v[4:5], 1, v[0:1]
	v_not_b32_e32 v3, v1
	s_waitcnt lgkmcnt(0)
	s_mul_i32 s4, s0, s2
	v_add_co_u32 v2, vcc_lo, v2, s10
	s_ashr_i32 s0, s8, 16
	s_sext_i32_i16 s1, s8
	v_add_co_ci_u32_e64 v3, null, s11, v3, vcc_lo
	v_add_co_u32 v4, vcc_lo, s14, v4
	v_cmp_eq_f32_e64 s8, s9, 1.0
	v_add_co_ci_u32_e64 v5, null, s15, v5, vcc_lo
	v_cvt_f32_i32_e32 v6, s0
	v_cvt_f32_i32_e32 v7, s1
	s_ashr_i32 s5, s4, 31
	s_mov_b32 s10, 0
	s_lshl_b64 s[6:7], s[4:5], 1
	s_mov_b32 s11, 0x3e76c4e1
	s_branch .LBB30_3
.LBB30_2:                               ;   in Loop: Header=BB30_3 Depth=1
	s_or_b32 exec_lo, exec_lo, s0
	v_cndmask_b32_e64 v10, v8, 1.0, s8
	v_cmp_neq_f32_e32 vcc_lo, 0, v10
	v_cmp_neq_f32_e64 s14, v10, |v10|
	v_cndmask_b32_e64 v11, 1.0, s9, vcc_lo
	v_frexp_mant_f32_e64 v8, |v11|
	v_cmp_lt_f32_e64 s15, |v11|, 1.0
	v_cmp_eq_f32_e64 s2, 0, v11
	v_cmp_gt_f32_e32 vcc_lo, 0x3f2aaaab, v8
	s_xor_b32 s14, s14, s15
	v_cndmask_b32_e64 v9, 1.0, 2.0, vcc_lo
	v_mul_f32_e32 v8, v8, v9
	v_add_f32_e32 v9, 1.0, v8
	v_add_f32_e32 v13, -1.0, v8
	v_rcp_f32_e32 v12, v9
	v_add_f32_e32 v15, -1.0, v9
	v_sub_f32_e32 v8, v8, v15
	v_mul_f32_e32 v14, v13, v12
	v_mul_f32_e32 v16, v9, v14
	v_fma_f32 v9, v14, v9, -v16
	v_fmac_f32_e32 v9, v14, v8
	v_add_f32_e32 v8, v16, v9
	v_sub_f32_e32 v15, v13, v8
	v_sub_f32_e32 v16, v8, v16
	;; [unrolled: 1-line block ×5, first 2 shown]
	v_add_f32_e32 v8, v9, v8
	v_add_f32_e32 v8, v15, v8
	v_mul_f32_e32 v8, v12, v8
	v_add_f32_e32 v12, v14, v8
	v_sub_f32_e32 v9, v12, v14
	v_mul_f32_e32 v13, v12, v12
	v_sub_f32_e32 v14, v8, v9
	v_fma_f32 v8, v12, v12, -v13
	v_add_f32_e32 v9, v14, v14
	v_fmac_f32_e32 v8, v12, v9
	v_add_f32_e32 v15, v13, v8
	v_fmaak_f32 v9, s11, v15, 0x3e91f4c4
	v_sub_f32_e32 v13, v15, v13
	v_mul_f32_e32 v20, v12, v15
	v_fmaak_f32 v9, v15, v9, 0x3ecccdef
	v_sub_f32_e32 v13, v8, v13
	v_fma_f32 v21, v15, v12, -v20
	v_mul_f32_e32 v16, v15, v9
	v_fmac_f32_e32 v21, v15, v14
	v_ldexp_f32 v14, v14, 1
	v_fma_f32 v17, v15, v9, -v16
	v_fmac_f32_e32 v21, v13, v12
	v_fmac_f32_e32 v17, v13, v9
	v_cvt_f64_f32_e64 v[8:9], |v11|
	v_add_f32_e32 v18, v16, v17
	v_sub_f32_e32 v16, v18, v16
	v_add_f32_e32 v19, 0x3f2aaaaa, v18
	v_sub_f32_e32 v16, v17, v16
	v_add_f32_e32 v17, 0xbf2aaaaa, v19
	v_add_f32_e32 v16, 0x31739010, v16
	v_sub_f32_e32 v17, v18, v17
	v_frexp_exp_i32_f64_e32 v8, v[8:9]
	v_add_f32_e32 v15, v16, v17
	v_add_f32_e32 v16, v20, v21
	;; [unrolled: 1-line block ×3, first 2 shown]
	v_sub_f32_e32 v18, v16, v20
	v_sub_f32_e32 v9, v19, v13
	v_mul_f32_e32 v17, v16, v13
	v_sub_f32_e32 v18, v21, v18
	v_add_f32_e32 v9, v15, v9
	v_fma_f32 v15, v16, v13, -v17
	v_subrev_co_ci_u32_e64 v8, null, 0, v8, vcc_lo
	v_fmac_f32_e32 v15, v16, v9
	v_ldexp_f32 v9, v12, 1
	v_cvt_f32_i32_e32 v8, v8
	v_fmac_f32_e32 v15, v18, v13
	v_add_f32_e32 v12, v17, v15
	v_add_f32_e32 v13, v9, v12
	v_sub_f32_e32 v16, v12, v17
	v_mul_f32_e32 v17, 0x3f317218, v8
	v_sub_f32_e32 v9, v13, v9
	v_sub_f32_e32 v15, v15, v16
	v_fma_f32 v16, 0x3f317218, v8, -v17
	v_sub_f32_e32 v9, v12, v9
	v_add_f32_e32 v12, v14, v15
	v_fmac_f32_e32 v16, 0xb102e308, v8
	v_add_f32_e32 v8, v12, v9
	v_add_f32_e32 v9, v17, v16
	;; [unrolled: 1-line block ×3, first 2 shown]
	v_sub_f32_e32 v17, v9, v17
	v_add_f32_e32 v14, v9, v12
	v_sub_f32_e32 v13, v12, v13
	v_sub_f32_e32 v16, v16, v17
	;; [unrolled: 1-line block ×6, first 2 shown]
	v_add_f32_e32 v13, v16, v8
	v_sub_f32_e32 v9, v9, v18
	v_add_f32_e32 v9, v12, v9
	v_sub_f32_e32 v12, v13, v16
	;; [unrolled: 2-line block ×3, first 2 shown]
	v_sub_f32_e32 v8, v8, v12
	v_add_f32_e32 v15, v14, v9
	v_sub_f32_e32 v12, v16, v13
	v_sub_f32_e32 v13, v15, v14
	v_add_f32_e32 v8, v8, v12
	v_sub_f32_e32 v9, v9, v13
	v_add_f32_e32 v8, v8, v9
	v_add_f32_e32 v9, v15, v8
	v_sub_f32_e32 v12, v9, v15
	v_mul_f32_e32 v13, v10, v9
	v_sub_f32_e32 v8, v8, v12
	v_fma_f32 v9, v10, v9, -v13
	v_cmp_class_f32_e64 vcc_lo, v13, 0x204
	v_fmac_f32_e32 v9, v10, v8
	v_add_f32_e32 v8, v13, v9
	v_cndmask_b32_e32 v12, v8, v13, vcc_lo
	v_sub_f32_e32 v8, v8, v13
	v_cmp_eq_f32_e32 vcc_lo, 0x42b17218, v12
	v_sub_f32_e32 v8, v9, v8
	v_cndmask_b32_e64 v14, 0, 0x37000000, vcc_lo
	v_cmp_neq_f32_e64 vcc_lo, 0x7f800000, |v12|
	v_sub_f32_e32 v15, v12, v14
	v_cndmask_b32_e32 v8, 0, v8, vcc_lo
	v_trunc_f32_e32 v12, v10
	v_mul_f32_e32 v16, 0x3fb8aa3b, v15
	v_cmp_ngt_f32_e32 vcc_lo, 0xc2ce8ed0, v15
	v_add_f32_e32 v8, v14, v8
	v_fma_f32 v17, 0x3fb8aa3b, v15, -v16
	v_rndne_f32_e32 v18, v16
	v_fmac_f32_e32 v17, 0x32a5705f, v15
	v_sub_f32_e32 v16, v16, v18
	v_cvt_i32_f32_e32 v13, v18
	v_add_f32_e32 v16, v16, v17
	v_exp_f32_e32 v16, v16
	v_ldexp_f32 v9, v16, v13
	v_mul_f32_e32 v13, 0.5, v10
	v_cndmask_b32_e32 v9, 0, v9, vcc_lo
	v_cmp_nlt_f32_e32 vcc_lo, 0x42b17218, v15
	v_trunc_f32_e32 v16, v13
	v_cndmask_b32_e32 v9, 0x7f800000, v9, vcc_lo
	v_cmp_eq_f32_e32 vcc_lo, v12, v10
	v_cmp_neq_f32_e64 s0, v16, v13
	v_fma_f32 v8, v9, v8, v9
	v_cmp_class_f32_e64 s1, v9, 0x204
	s_and_b32 s0, vcc_lo, s0
	v_cndmask_b32_e64 v12, 1.0, v11, s0
	v_cndmask_b32_e64 v14, 0, v11, s0
	v_cndmask_b32_e64 v8, v8, v9, s1
	;; [unrolled: 1-line block ×3, first 2 shown]
	v_cmp_gt_f32_e64 s1, 0, v10
	v_cmp_class_f32_e64 s0, v11, 0x204
	v_bfi_b32 v8, 0x7fffffff, v8, v12
	s_xor_b32 s1, s1, s2
	v_cndmask_b32_e64 v12, 0x7f800000, 0, s1
	v_cndmask_b32_e32 v13, 0x7fc00000, v8, vcc_lo
	v_cmp_neq_f32_e64 vcc_lo, |v11|, 1.0
	v_bfi_b32 v12, 0x7fffffff, v12, v14
	v_cndmask_b32_e32 v9, 1.0, v9, vcc_lo
	v_cmp_gt_f32_e32 vcc_lo, 0, v11
	v_cndmask_b32_e32 v8, v8, v13, vcc_lo
	v_cmp_class_f32_e64 vcc_lo, v10, 0x204
	v_cndmask_b32_e32 v8, v8, v9, vcc_lo
	s_or_b32 vcc_lo, s2, s0
	v_cndmask_b32_e32 v8, v8, v12, vcc_lo
	v_cmp_o_f32_e32 vcc_lo, v11, v10
	v_cndmask_b32_e32 v8, 0x7fc00000, v8, vcc_lo
	v_add_co_u32 v0, vcc_lo, v0, s4
	v_add_co_ci_u32_e64 v1, null, s5, v1, vcc_lo
	v_cvt_i32_f32_e32 v8, v8
	v_sub_co_u32 v2, vcc_lo, v2, s4
	v_subrev_co_ci_u32_e64 v3, null, s5, v3, vcc_lo
	v_cmp_le_i32_e32 vcc_lo, s3, v0
	global_store_short v[4:5], v8, off
	v_add_co_u32 v4, s0, v4, s6
	v_add_co_ci_u32_e64 v5, null, s7, v5, s0
	s_or_b32 s10, vcc_lo, s10
	s_andn2_b32 exec_lo, exec_lo, s10
	s_cbranch_execz .LBB30_7
.LBB30_3:                               ; =>This Inner Loop Header: Depth=1
	s_mov_b32 s0, exec_lo
                                        ; implicit-def: $vgpr8
	v_cmpx_le_i64_e64 s[12:13], v[0:1]
	s_xor_b32 s0, exec_lo, s0
	s_cbranch_execz .LBB30_5
; %bb.4:                                ;   in Loop: Header=BB30_3 Depth=1
	v_xor_b32_e32 v8, v2, v3
	v_ffbh_i32_e32 v9, v3
	v_ashrrev_i32_e32 v8, 31, v8
	v_add_nc_u32_e32 v9, -1, v9
	v_add_nc_u32_e32 v8, 32, v8
	v_min_u32_e32 v10, v9, v8
	v_lshlrev_b64 v[8:9], v10, v[2:3]
	v_min_u32_e32 v8, 1, v8
	v_or_b32_e32 v8, v9, v8
	v_sub_nc_u32_e32 v9, 32, v10
	v_cvt_f32_i32_e32 v8, v8
	v_ldexp_f32 v8, v8, v9
	v_fma_f32 v8, -s16, v8, v6
.LBB30_5:                               ;   in Loop: Header=BB30_3 Depth=1
	s_andn2_saveexec_b32 s0, s0
	s_cbranch_execz .LBB30_2
; %bb.6:                                ;   in Loop: Header=BB30_3 Depth=1
	v_cvt_f32_i32_e32 v8, v0
	v_fma_f32 v8, s16, v8, v7
	s_branch .LBB30_2
.LBB30_7:
	s_endpgm
	.section	.rodata,"a",@progbits
	.p2align	6, 0x0
	.amdhsa_kernel _ZN12_GLOBAL__N_141elementwise_kernel_with_index_grid_strideIiZZZN2at6native17logspace_cuda_outERKN3c106ScalarES6_ldRNS1_6TensorEENKUlvE_clEvENKUlvE3_clEvEUllE_EEvT_T0_PN15function_traitsISD_E11result_typeE
		.amdhsa_group_segment_fixed_size 0
		.amdhsa_private_segment_fixed_size 0
		.amdhsa_kernarg_size 304
		.amdhsa_user_sgpr_count 6
		.amdhsa_user_sgpr_private_segment_buffer 1
		.amdhsa_user_sgpr_dispatch_ptr 0
		.amdhsa_user_sgpr_queue_ptr 0
		.amdhsa_user_sgpr_kernarg_segment_ptr 1
		.amdhsa_user_sgpr_dispatch_id 0
		.amdhsa_user_sgpr_flat_scratch_init 0
		.amdhsa_user_sgpr_private_segment_size 0
		.amdhsa_wavefront_size32 1
		.amdhsa_uses_dynamic_stack 0
		.amdhsa_system_sgpr_private_segment_wavefront_offset 0
		.amdhsa_system_sgpr_workgroup_id_x 1
		.amdhsa_system_sgpr_workgroup_id_y 0
		.amdhsa_system_sgpr_workgroup_id_z 0
		.amdhsa_system_sgpr_workgroup_info 0
		.amdhsa_system_vgpr_workitem_id 0
		.amdhsa_next_free_vgpr 22
		.amdhsa_next_free_sgpr 17
		.amdhsa_reserve_vcc 1
		.amdhsa_reserve_flat_scratch 0
		.amdhsa_float_round_mode_32 0
		.amdhsa_float_round_mode_16_64 0
		.amdhsa_float_denorm_mode_32 3
		.amdhsa_float_denorm_mode_16_64 3
		.amdhsa_dx10_clamp 1
		.amdhsa_ieee_mode 1
		.amdhsa_fp16_overflow 0
		.amdhsa_workgroup_processor_mode 1
		.amdhsa_memory_ordered 1
		.amdhsa_forward_progress 1
		.amdhsa_shared_vgpr_count 0
		.amdhsa_exception_fp_ieee_invalid_op 0
		.amdhsa_exception_fp_denorm_src 0
		.amdhsa_exception_fp_ieee_div_zero 0
		.amdhsa_exception_fp_ieee_overflow 0
		.amdhsa_exception_fp_ieee_underflow 0
		.amdhsa_exception_fp_ieee_inexact 0
		.amdhsa_exception_int_div_zero 0
	.end_amdhsa_kernel
	.section	.text._ZN12_GLOBAL__N_141elementwise_kernel_with_index_grid_strideIiZZZN2at6native17logspace_cuda_outERKN3c106ScalarES6_ldRNS1_6TensorEENKUlvE_clEvENKUlvE3_clEvEUllE_EEvT_T0_PN15function_traitsISD_E11result_typeE,"axG",@progbits,_ZN12_GLOBAL__N_141elementwise_kernel_with_index_grid_strideIiZZZN2at6native17logspace_cuda_outERKN3c106ScalarES6_ldRNS1_6TensorEENKUlvE_clEvENKUlvE3_clEvEUllE_EEvT_T0_PN15function_traitsISD_E11result_typeE,comdat
.Lfunc_end30:
	.size	_ZN12_GLOBAL__N_141elementwise_kernel_with_index_grid_strideIiZZZN2at6native17logspace_cuda_outERKN3c106ScalarES6_ldRNS1_6TensorEENKUlvE_clEvENKUlvE3_clEvEUllE_EEvT_T0_PN15function_traitsISD_E11result_typeE, .Lfunc_end30-_ZN12_GLOBAL__N_141elementwise_kernel_with_index_grid_strideIiZZZN2at6native17logspace_cuda_outERKN3c106ScalarES6_ldRNS1_6TensorEENKUlvE_clEvENKUlvE3_clEvEUllE_EEvT_T0_PN15function_traitsISD_E11result_typeE
                                        ; -- End function
	.set _ZN12_GLOBAL__N_141elementwise_kernel_with_index_grid_strideIiZZZN2at6native17logspace_cuda_outERKN3c106ScalarES6_ldRNS1_6TensorEENKUlvE_clEvENKUlvE3_clEvEUllE_EEvT_T0_PN15function_traitsISD_E11result_typeE.num_vgpr, 22
	.set _ZN12_GLOBAL__N_141elementwise_kernel_with_index_grid_strideIiZZZN2at6native17logspace_cuda_outERKN3c106ScalarES6_ldRNS1_6TensorEENKUlvE_clEvENKUlvE3_clEvEUllE_EEvT_T0_PN15function_traitsISD_E11result_typeE.num_agpr, 0
	.set _ZN12_GLOBAL__N_141elementwise_kernel_with_index_grid_strideIiZZZN2at6native17logspace_cuda_outERKN3c106ScalarES6_ldRNS1_6TensorEENKUlvE_clEvENKUlvE3_clEvEUllE_EEvT_T0_PN15function_traitsISD_E11result_typeE.numbered_sgpr, 17
	.set _ZN12_GLOBAL__N_141elementwise_kernel_with_index_grid_strideIiZZZN2at6native17logspace_cuda_outERKN3c106ScalarES6_ldRNS1_6TensorEENKUlvE_clEvENKUlvE3_clEvEUllE_EEvT_T0_PN15function_traitsISD_E11result_typeE.num_named_barrier, 0
	.set _ZN12_GLOBAL__N_141elementwise_kernel_with_index_grid_strideIiZZZN2at6native17logspace_cuda_outERKN3c106ScalarES6_ldRNS1_6TensorEENKUlvE_clEvENKUlvE3_clEvEUllE_EEvT_T0_PN15function_traitsISD_E11result_typeE.private_seg_size, 0
	.set _ZN12_GLOBAL__N_141elementwise_kernel_with_index_grid_strideIiZZZN2at6native17logspace_cuda_outERKN3c106ScalarES6_ldRNS1_6TensorEENKUlvE_clEvENKUlvE3_clEvEUllE_EEvT_T0_PN15function_traitsISD_E11result_typeE.uses_vcc, 1
	.set _ZN12_GLOBAL__N_141elementwise_kernel_with_index_grid_strideIiZZZN2at6native17logspace_cuda_outERKN3c106ScalarES6_ldRNS1_6TensorEENKUlvE_clEvENKUlvE3_clEvEUllE_EEvT_T0_PN15function_traitsISD_E11result_typeE.uses_flat_scratch, 0
	.set _ZN12_GLOBAL__N_141elementwise_kernel_with_index_grid_strideIiZZZN2at6native17logspace_cuda_outERKN3c106ScalarES6_ldRNS1_6TensorEENKUlvE_clEvENKUlvE3_clEvEUllE_EEvT_T0_PN15function_traitsISD_E11result_typeE.has_dyn_sized_stack, 0
	.set _ZN12_GLOBAL__N_141elementwise_kernel_with_index_grid_strideIiZZZN2at6native17logspace_cuda_outERKN3c106ScalarES6_ldRNS1_6TensorEENKUlvE_clEvENKUlvE3_clEvEUllE_EEvT_T0_PN15function_traitsISD_E11result_typeE.has_recursion, 0
	.set _ZN12_GLOBAL__N_141elementwise_kernel_with_index_grid_strideIiZZZN2at6native17logspace_cuda_outERKN3c106ScalarES6_ldRNS1_6TensorEENKUlvE_clEvENKUlvE3_clEvEUllE_EEvT_T0_PN15function_traitsISD_E11result_typeE.has_indirect_call, 0
	.section	.AMDGPU.csdata,"",@progbits
; Kernel info:
; codeLenInByte = 1320
; TotalNumSgprs: 19
; NumVgprs: 22
; ScratchSize: 0
; MemoryBound: 0
; FloatMode: 240
; IeeeMode: 1
; LDSByteSize: 0 bytes/workgroup (compile time only)
; SGPRBlocks: 0
; VGPRBlocks: 2
; NumSGPRsForWavesPerEU: 19
; NumVGPRsForWavesPerEU: 22
; Occupancy: 16
; WaveLimiterHint : 0
; COMPUTE_PGM_RSRC2:SCRATCH_EN: 0
; COMPUTE_PGM_RSRC2:USER_SGPR: 6
; COMPUTE_PGM_RSRC2:TRAP_HANDLER: 0
; COMPUTE_PGM_RSRC2:TGID_X_EN: 1
; COMPUTE_PGM_RSRC2:TGID_Y_EN: 0
; COMPUTE_PGM_RSRC2:TGID_Z_EN: 0
; COMPUTE_PGM_RSRC2:TIDIG_COMP_CNT: 0
	.section	.text._ZN12_GLOBAL__N_141elementwise_kernel_with_index_grid_strideIlZZZN2at6native17logspace_cuda_outERKN3c106ScalarES6_ldRNS1_6TensorEENKUlvE_clEvENKUlvE3_clEvEUllE_EEvT_T0_PN15function_traitsISD_E11result_typeE,"axG",@progbits,_ZN12_GLOBAL__N_141elementwise_kernel_with_index_grid_strideIlZZZN2at6native17logspace_cuda_outERKN3c106ScalarES6_ldRNS1_6TensorEENKUlvE_clEvENKUlvE3_clEvEUllE_EEvT_T0_PN15function_traitsISD_E11result_typeE,comdat
	.globl	_ZN12_GLOBAL__N_141elementwise_kernel_with_index_grid_strideIlZZZN2at6native17logspace_cuda_outERKN3c106ScalarES6_ldRNS1_6TensorEENKUlvE_clEvENKUlvE3_clEvEUllE_EEvT_T0_PN15function_traitsISD_E11result_typeE ; -- Begin function _ZN12_GLOBAL__N_141elementwise_kernel_with_index_grid_strideIlZZZN2at6native17logspace_cuda_outERKN3c106ScalarES6_ldRNS1_6TensorEENKUlvE_clEvENKUlvE3_clEvEUllE_EEvT_T0_PN15function_traitsISD_E11result_typeE
	.p2align	8
	.type	_ZN12_GLOBAL__N_141elementwise_kernel_with_index_grid_strideIlZZZN2at6native17logspace_cuda_outERKN3c106ScalarES6_ldRNS1_6TensorEENKUlvE_clEvENKUlvE3_clEvEUllE_EEvT_T0_PN15function_traitsISD_E11result_typeE,@function
_ZN12_GLOBAL__N_141elementwise_kernel_with_index_grid_strideIlZZZN2at6native17logspace_cuda_outERKN3c106ScalarES6_ldRNS1_6TensorEENKUlvE_clEvENKUlvE3_clEvEUllE_EEvT_T0_PN15function_traitsISD_E11result_typeE: ; @_ZN12_GLOBAL__N_141elementwise_kernel_with_index_grid_strideIlZZZN2at6native17logspace_cuda_outERKN3c106ScalarES6_ldRNS1_6TensorEENKUlvE_clEvENKUlvE3_clEvEUllE_EEvT_T0_PN15function_traitsISD_E11result_typeE
; %bb.0:
	s_clause 0x1
	s_load_dword s2, s[4:5], 0x3c
	s_load_dwordx2 s[16:17], s[4:5], 0x0
	v_mov_b32_e32 v1, 0
	s_add_u32 s0, s4, 48
	s_addc_u32 s1, s5, 0
	s_mov_b32 s3, exec_lo
	s_waitcnt lgkmcnt(0)
	s_and_b32 s2, s2, 0xffff
	v_mad_u64_u32 v[0:1], null, s2, s6, v[0:1]
	v_cmpx_gt_i64_e64 s[16:17], v[0:1]
	s_cbranch_execz .LBB31_7
; %bb.1:
	s_load_dword s0, s[0:1], 0x0
	s_clause 0x2
	s_load_dwordx4 s[8:11], s[4:5], 0x8
	s_load_dwordx4 s[12:15], s[4:5], 0x20
	s_load_dword s3, s[4:5], 0x18
	v_not_b32_e32 v2, v0
	v_lshlrev_b64 v[4:5], 1, v[0:1]
	v_not_b32_e32 v3, v1
	s_waitcnt lgkmcnt(0)
	s_mul_hi_u32 s5, s2, s0
	v_add_co_u32 v2, vcc_lo, v2, s10
	s_mul_i32 s4, s2, s0
	s_ashr_i32 s0, s8, 16
	s_sext_i32_i16 s1, s8
	v_add_co_ci_u32_e64 v3, null, s11, v3, vcc_lo
	v_add_co_u32 v4, vcc_lo, s14, v4
	v_cmp_eq_f32_e64 s8, s9, 1.0
	v_cvt_f32_i32_e32 v6, s0
	v_cvt_f32_i32_e32 v7, s1
	v_add_co_ci_u32_e64 v5, null, s15, v5, vcc_lo
	s_mov_b32 s10, 0
	s_lshl_b64 s[6:7], s[4:5], 1
	s_mov_b32 s11, 0x3e76c4e1
	s_branch .LBB31_3
.LBB31_2:                               ;   in Loop: Header=BB31_3 Depth=1
	s_or_b32 exec_lo, exec_lo, s0
	v_cndmask_b32_e64 v10, v8, 1.0, s8
	v_cmp_neq_f32_e32 vcc_lo, 0, v10
	v_cmp_neq_f32_e64 s14, v10, |v10|
	v_cndmask_b32_e64 v11, 1.0, s9, vcc_lo
	v_frexp_mant_f32_e64 v8, |v11|
	v_cmp_lt_f32_e64 s15, |v11|, 1.0
	v_cmp_eq_f32_e64 s2, 0, v11
	v_cmp_gt_f32_e32 vcc_lo, 0x3f2aaaab, v8
	s_xor_b32 s14, s14, s15
	v_cndmask_b32_e64 v9, 1.0, 2.0, vcc_lo
	v_mul_f32_e32 v8, v8, v9
	v_add_f32_e32 v9, 1.0, v8
	v_add_f32_e32 v13, -1.0, v8
	v_rcp_f32_e32 v12, v9
	v_add_f32_e32 v15, -1.0, v9
	v_sub_f32_e32 v8, v8, v15
	v_mul_f32_e32 v14, v13, v12
	v_mul_f32_e32 v16, v9, v14
	v_fma_f32 v9, v14, v9, -v16
	v_fmac_f32_e32 v9, v14, v8
	v_add_f32_e32 v8, v16, v9
	v_sub_f32_e32 v15, v13, v8
	v_sub_f32_e32 v16, v8, v16
	;; [unrolled: 1-line block ×5, first 2 shown]
	v_add_f32_e32 v8, v9, v8
	v_add_f32_e32 v8, v15, v8
	v_mul_f32_e32 v8, v12, v8
	v_add_f32_e32 v12, v14, v8
	v_sub_f32_e32 v9, v12, v14
	v_mul_f32_e32 v13, v12, v12
	v_sub_f32_e32 v14, v8, v9
	v_fma_f32 v8, v12, v12, -v13
	v_add_f32_e32 v9, v14, v14
	v_fmac_f32_e32 v8, v12, v9
	v_add_f32_e32 v15, v13, v8
	v_fmaak_f32 v9, s11, v15, 0x3e91f4c4
	v_sub_f32_e32 v13, v15, v13
	v_mul_f32_e32 v20, v12, v15
	v_fmaak_f32 v9, v15, v9, 0x3ecccdef
	v_sub_f32_e32 v13, v8, v13
	v_fma_f32 v21, v15, v12, -v20
	v_mul_f32_e32 v16, v15, v9
	v_fmac_f32_e32 v21, v15, v14
	v_ldexp_f32 v14, v14, 1
	v_fma_f32 v17, v15, v9, -v16
	v_fmac_f32_e32 v21, v13, v12
	v_fmac_f32_e32 v17, v13, v9
	v_cvt_f64_f32_e64 v[8:9], |v11|
	v_add_f32_e32 v18, v16, v17
	v_sub_f32_e32 v16, v18, v16
	v_add_f32_e32 v19, 0x3f2aaaaa, v18
	v_sub_f32_e32 v16, v17, v16
	v_add_f32_e32 v17, 0xbf2aaaaa, v19
	v_add_f32_e32 v16, 0x31739010, v16
	v_sub_f32_e32 v17, v18, v17
	v_frexp_exp_i32_f64_e32 v8, v[8:9]
	v_add_f32_e32 v15, v16, v17
	v_add_f32_e32 v16, v20, v21
	;; [unrolled: 1-line block ×3, first 2 shown]
	v_sub_f32_e32 v18, v16, v20
	v_sub_f32_e32 v9, v19, v13
	v_mul_f32_e32 v17, v16, v13
	v_sub_f32_e32 v18, v21, v18
	v_add_f32_e32 v9, v15, v9
	v_fma_f32 v15, v16, v13, -v17
	v_subrev_co_ci_u32_e64 v8, null, 0, v8, vcc_lo
	v_fmac_f32_e32 v15, v16, v9
	v_ldexp_f32 v9, v12, 1
	v_cvt_f32_i32_e32 v8, v8
	v_fmac_f32_e32 v15, v18, v13
	v_add_f32_e32 v12, v17, v15
	v_add_f32_e32 v13, v9, v12
	v_sub_f32_e32 v16, v12, v17
	v_mul_f32_e32 v17, 0x3f317218, v8
	v_sub_f32_e32 v9, v13, v9
	v_sub_f32_e32 v15, v15, v16
	v_fma_f32 v16, 0x3f317218, v8, -v17
	v_sub_f32_e32 v9, v12, v9
	v_add_f32_e32 v12, v14, v15
	v_fmac_f32_e32 v16, 0xb102e308, v8
	v_add_f32_e32 v8, v12, v9
	v_add_f32_e32 v9, v17, v16
	;; [unrolled: 1-line block ×3, first 2 shown]
	v_sub_f32_e32 v17, v9, v17
	v_add_f32_e32 v14, v9, v12
	v_sub_f32_e32 v13, v12, v13
	v_sub_f32_e32 v16, v16, v17
	;; [unrolled: 1-line block ×6, first 2 shown]
	v_add_f32_e32 v13, v16, v8
	v_sub_f32_e32 v9, v9, v18
	v_add_f32_e32 v9, v12, v9
	v_sub_f32_e32 v12, v13, v16
	v_add_f32_e32 v9, v13, v9
	v_sub_f32_e32 v13, v13, v12
	v_sub_f32_e32 v8, v8, v12
	v_add_f32_e32 v15, v14, v9
	v_sub_f32_e32 v12, v16, v13
	v_sub_f32_e32 v13, v15, v14
	v_add_f32_e32 v8, v8, v12
	v_sub_f32_e32 v9, v9, v13
	v_add_f32_e32 v8, v8, v9
	v_add_f32_e32 v9, v15, v8
	v_sub_f32_e32 v12, v9, v15
	v_mul_f32_e32 v13, v10, v9
	v_sub_f32_e32 v8, v8, v12
	v_fma_f32 v9, v10, v9, -v13
	v_cmp_class_f32_e64 vcc_lo, v13, 0x204
	v_fmac_f32_e32 v9, v10, v8
	v_add_f32_e32 v8, v13, v9
	v_cndmask_b32_e32 v12, v8, v13, vcc_lo
	v_sub_f32_e32 v8, v8, v13
	v_cmp_eq_f32_e32 vcc_lo, 0x42b17218, v12
	v_sub_f32_e32 v8, v9, v8
	v_cndmask_b32_e64 v14, 0, 0x37000000, vcc_lo
	v_cmp_neq_f32_e64 vcc_lo, 0x7f800000, |v12|
	v_sub_f32_e32 v15, v12, v14
	v_cndmask_b32_e32 v8, 0, v8, vcc_lo
	v_trunc_f32_e32 v12, v10
	v_mul_f32_e32 v16, 0x3fb8aa3b, v15
	v_cmp_ngt_f32_e32 vcc_lo, 0xc2ce8ed0, v15
	v_add_f32_e32 v8, v14, v8
	v_fma_f32 v17, 0x3fb8aa3b, v15, -v16
	v_rndne_f32_e32 v18, v16
	v_fmac_f32_e32 v17, 0x32a5705f, v15
	v_sub_f32_e32 v16, v16, v18
	v_cvt_i32_f32_e32 v13, v18
	v_add_f32_e32 v16, v16, v17
	v_exp_f32_e32 v16, v16
	v_ldexp_f32 v9, v16, v13
	v_mul_f32_e32 v13, 0.5, v10
	v_cndmask_b32_e32 v9, 0, v9, vcc_lo
	v_cmp_nlt_f32_e32 vcc_lo, 0x42b17218, v15
	v_trunc_f32_e32 v16, v13
	v_cndmask_b32_e32 v9, 0x7f800000, v9, vcc_lo
	v_cmp_eq_f32_e32 vcc_lo, v12, v10
	v_cmp_neq_f32_e64 s0, v16, v13
	v_fma_f32 v8, v9, v8, v9
	v_cmp_class_f32_e64 s1, v9, 0x204
	s_and_b32 s0, vcc_lo, s0
	v_cndmask_b32_e64 v12, 1.0, v11, s0
	v_cndmask_b32_e64 v14, 0, v11, s0
	v_cndmask_b32_e64 v8, v8, v9, s1
	;; [unrolled: 1-line block ×3, first 2 shown]
	v_cmp_gt_f32_e64 s1, 0, v10
	v_cmp_class_f32_e64 s0, v11, 0x204
	v_bfi_b32 v8, 0x7fffffff, v8, v12
	s_xor_b32 s1, s1, s2
	v_cndmask_b32_e64 v12, 0x7f800000, 0, s1
	v_cndmask_b32_e32 v13, 0x7fc00000, v8, vcc_lo
	v_cmp_neq_f32_e64 vcc_lo, |v11|, 1.0
	v_bfi_b32 v12, 0x7fffffff, v12, v14
	v_cndmask_b32_e32 v9, 1.0, v9, vcc_lo
	v_cmp_gt_f32_e32 vcc_lo, 0, v11
	v_cndmask_b32_e32 v8, v8, v13, vcc_lo
	v_cmp_class_f32_e64 vcc_lo, v10, 0x204
	v_cndmask_b32_e32 v8, v8, v9, vcc_lo
	s_or_b32 vcc_lo, s2, s0
	v_cndmask_b32_e32 v8, v8, v12, vcc_lo
	v_cmp_o_f32_e32 vcc_lo, v11, v10
	v_cndmask_b32_e32 v8, 0x7fc00000, v8, vcc_lo
	v_add_co_u32 v0, vcc_lo, v0, s4
	v_add_co_ci_u32_e64 v1, null, s5, v1, vcc_lo
	v_cvt_i32_f32_e32 v8, v8
	v_sub_co_u32 v2, vcc_lo, v2, s4
	v_subrev_co_ci_u32_e64 v3, null, s5, v3, vcc_lo
	v_cmp_le_i64_e32 vcc_lo, s[16:17], v[0:1]
	global_store_short v[4:5], v8, off
	v_add_co_u32 v4, s0, v4, s6
	v_add_co_ci_u32_e64 v5, null, s7, v5, s0
	s_or_b32 s10, vcc_lo, s10
	s_andn2_b32 exec_lo, exec_lo, s10
	s_cbranch_execz .LBB31_7
.LBB31_3:                               ; =>This Inner Loop Header: Depth=1
	s_mov_b32 s0, exec_lo
                                        ; implicit-def: $vgpr8
	v_cmpx_le_i64_e64 s[12:13], v[0:1]
	s_xor_b32 s0, exec_lo, s0
	s_cbranch_execz .LBB31_5
; %bb.4:                                ;   in Loop: Header=BB31_3 Depth=1
	v_xor_b32_e32 v8, v2, v3
	v_ffbh_i32_e32 v9, v3
	v_ashrrev_i32_e32 v8, 31, v8
	v_add_nc_u32_e32 v9, -1, v9
	v_add_nc_u32_e32 v8, 32, v8
	v_min_u32_e32 v10, v9, v8
	v_lshlrev_b64 v[8:9], v10, v[2:3]
	v_min_u32_e32 v8, 1, v8
	v_or_b32_e32 v8, v9, v8
	v_sub_nc_u32_e32 v9, 32, v10
	v_cvt_f32_i32_e32 v8, v8
	v_ldexp_f32 v8, v8, v9
	v_fma_f32 v8, -s3, v8, v6
.LBB31_5:                               ;   in Loop: Header=BB31_3 Depth=1
	s_andn2_saveexec_b32 s0, s0
	s_cbranch_execz .LBB31_2
; %bb.6:                                ;   in Loop: Header=BB31_3 Depth=1
	v_ffbh_u32_e32 v8, v1
	v_min_u32_e32 v10, 32, v8
	v_lshlrev_b64 v[8:9], v10, v[0:1]
	v_min_u32_e32 v8, 1, v8
	v_or_b32_e32 v8, v9, v8
	v_sub_nc_u32_e32 v9, 32, v10
	v_cvt_f32_u32_e32 v8, v8
	v_ldexp_f32 v8, v8, v9
	v_fma_f32 v8, s3, v8, v7
	s_branch .LBB31_2
.LBB31_7:
	s_endpgm
	.section	.rodata,"a",@progbits
	.p2align	6, 0x0
	.amdhsa_kernel _ZN12_GLOBAL__N_141elementwise_kernel_with_index_grid_strideIlZZZN2at6native17logspace_cuda_outERKN3c106ScalarES6_ldRNS1_6TensorEENKUlvE_clEvENKUlvE3_clEvEUllE_EEvT_T0_PN15function_traitsISD_E11result_typeE
		.amdhsa_group_segment_fixed_size 0
		.amdhsa_private_segment_fixed_size 0
		.amdhsa_kernarg_size 304
		.amdhsa_user_sgpr_count 6
		.amdhsa_user_sgpr_private_segment_buffer 1
		.amdhsa_user_sgpr_dispatch_ptr 0
		.amdhsa_user_sgpr_queue_ptr 0
		.amdhsa_user_sgpr_kernarg_segment_ptr 1
		.amdhsa_user_sgpr_dispatch_id 0
		.amdhsa_user_sgpr_flat_scratch_init 0
		.amdhsa_user_sgpr_private_segment_size 0
		.amdhsa_wavefront_size32 1
		.amdhsa_uses_dynamic_stack 0
		.amdhsa_system_sgpr_private_segment_wavefront_offset 0
		.amdhsa_system_sgpr_workgroup_id_x 1
		.amdhsa_system_sgpr_workgroup_id_y 0
		.amdhsa_system_sgpr_workgroup_id_z 0
		.amdhsa_system_sgpr_workgroup_info 0
		.amdhsa_system_vgpr_workitem_id 0
		.amdhsa_next_free_vgpr 22
		.amdhsa_next_free_sgpr 18
		.amdhsa_reserve_vcc 1
		.amdhsa_reserve_flat_scratch 0
		.amdhsa_float_round_mode_32 0
		.amdhsa_float_round_mode_16_64 0
		.amdhsa_float_denorm_mode_32 3
		.amdhsa_float_denorm_mode_16_64 3
		.amdhsa_dx10_clamp 1
		.amdhsa_ieee_mode 1
		.amdhsa_fp16_overflow 0
		.amdhsa_workgroup_processor_mode 1
		.amdhsa_memory_ordered 1
		.amdhsa_forward_progress 1
		.amdhsa_shared_vgpr_count 0
		.amdhsa_exception_fp_ieee_invalid_op 0
		.amdhsa_exception_fp_denorm_src 0
		.amdhsa_exception_fp_ieee_div_zero 0
		.amdhsa_exception_fp_ieee_overflow 0
		.amdhsa_exception_fp_ieee_underflow 0
		.amdhsa_exception_fp_ieee_inexact 0
		.amdhsa_exception_int_div_zero 0
	.end_amdhsa_kernel
	.section	.text._ZN12_GLOBAL__N_141elementwise_kernel_with_index_grid_strideIlZZZN2at6native17logspace_cuda_outERKN3c106ScalarES6_ldRNS1_6TensorEENKUlvE_clEvENKUlvE3_clEvEUllE_EEvT_T0_PN15function_traitsISD_E11result_typeE,"axG",@progbits,_ZN12_GLOBAL__N_141elementwise_kernel_with_index_grid_strideIlZZZN2at6native17logspace_cuda_outERKN3c106ScalarES6_ldRNS1_6TensorEENKUlvE_clEvENKUlvE3_clEvEUllE_EEvT_T0_PN15function_traitsISD_E11result_typeE,comdat
.Lfunc_end31:
	.size	_ZN12_GLOBAL__N_141elementwise_kernel_with_index_grid_strideIlZZZN2at6native17logspace_cuda_outERKN3c106ScalarES6_ldRNS1_6TensorEENKUlvE_clEvENKUlvE3_clEvEUllE_EEvT_T0_PN15function_traitsISD_E11result_typeE, .Lfunc_end31-_ZN12_GLOBAL__N_141elementwise_kernel_with_index_grid_strideIlZZZN2at6native17logspace_cuda_outERKN3c106ScalarES6_ldRNS1_6TensorEENKUlvE_clEvENKUlvE3_clEvEUllE_EEvT_T0_PN15function_traitsISD_E11result_typeE
                                        ; -- End function
	.set _ZN12_GLOBAL__N_141elementwise_kernel_with_index_grid_strideIlZZZN2at6native17logspace_cuda_outERKN3c106ScalarES6_ldRNS1_6TensorEENKUlvE_clEvENKUlvE3_clEvEUllE_EEvT_T0_PN15function_traitsISD_E11result_typeE.num_vgpr, 22
	.set _ZN12_GLOBAL__N_141elementwise_kernel_with_index_grid_strideIlZZZN2at6native17logspace_cuda_outERKN3c106ScalarES6_ldRNS1_6TensorEENKUlvE_clEvENKUlvE3_clEvEUllE_EEvT_T0_PN15function_traitsISD_E11result_typeE.num_agpr, 0
	.set _ZN12_GLOBAL__N_141elementwise_kernel_with_index_grid_strideIlZZZN2at6native17logspace_cuda_outERKN3c106ScalarES6_ldRNS1_6TensorEENKUlvE_clEvENKUlvE3_clEvEUllE_EEvT_T0_PN15function_traitsISD_E11result_typeE.numbered_sgpr, 18
	.set _ZN12_GLOBAL__N_141elementwise_kernel_with_index_grid_strideIlZZZN2at6native17logspace_cuda_outERKN3c106ScalarES6_ldRNS1_6TensorEENKUlvE_clEvENKUlvE3_clEvEUllE_EEvT_T0_PN15function_traitsISD_E11result_typeE.num_named_barrier, 0
	.set _ZN12_GLOBAL__N_141elementwise_kernel_with_index_grid_strideIlZZZN2at6native17logspace_cuda_outERKN3c106ScalarES6_ldRNS1_6TensorEENKUlvE_clEvENKUlvE3_clEvEUllE_EEvT_T0_PN15function_traitsISD_E11result_typeE.private_seg_size, 0
	.set _ZN12_GLOBAL__N_141elementwise_kernel_with_index_grid_strideIlZZZN2at6native17logspace_cuda_outERKN3c106ScalarES6_ldRNS1_6TensorEENKUlvE_clEvENKUlvE3_clEvEUllE_EEvT_T0_PN15function_traitsISD_E11result_typeE.uses_vcc, 1
	.set _ZN12_GLOBAL__N_141elementwise_kernel_with_index_grid_strideIlZZZN2at6native17logspace_cuda_outERKN3c106ScalarES6_ldRNS1_6TensorEENKUlvE_clEvENKUlvE3_clEvEUllE_EEvT_T0_PN15function_traitsISD_E11result_typeE.uses_flat_scratch, 0
	.set _ZN12_GLOBAL__N_141elementwise_kernel_with_index_grid_strideIlZZZN2at6native17logspace_cuda_outERKN3c106ScalarES6_ldRNS1_6TensorEENKUlvE_clEvENKUlvE3_clEvEUllE_EEvT_T0_PN15function_traitsISD_E11result_typeE.has_dyn_sized_stack, 0
	.set _ZN12_GLOBAL__N_141elementwise_kernel_with_index_grid_strideIlZZZN2at6native17logspace_cuda_outERKN3c106ScalarES6_ldRNS1_6TensorEENKUlvE_clEvENKUlvE3_clEvEUllE_EEvT_T0_PN15function_traitsISD_E11result_typeE.has_recursion, 0
	.set _ZN12_GLOBAL__N_141elementwise_kernel_with_index_grid_strideIlZZZN2at6native17logspace_cuda_outERKN3c106ScalarES6_ldRNS1_6TensorEENKUlvE_clEvENKUlvE3_clEvEUllE_EEvT_T0_PN15function_traitsISD_E11result_typeE.has_indirect_call, 0
	.section	.AMDGPU.csdata,"",@progbits
; Kernel info:
; codeLenInByte = 1356
; TotalNumSgprs: 20
; NumVgprs: 22
; ScratchSize: 0
; MemoryBound: 0
; FloatMode: 240
; IeeeMode: 1
; LDSByteSize: 0 bytes/workgroup (compile time only)
; SGPRBlocks: 0
; VGPRBlocks: 2
; NumSGPRsForWavesPerEU: 20
; NumVGPRsForWavesPerEU: 22
; Occupancy: 16
; WaveLimiterHint : 0
; COMPUTE_PGM_RSRC2:SCRATCH_EN: 0
; COMPUTE_PGM_RSRC2:USER_SGPR: 6
; COMPUTE_PGM_RSRC2:TRAP_HANDLER: 0
; COMPUTE_PGM_RSRC2:TGID_X_EN: 1
; COMPUTE_PGM_RSRC2:TGID_Y_EN: 0
; COMPUTE_PGM_RSRC2:TGID_Z_EN: 0
; COMPUTE_PGM_RSRC2:TIDIG_COMP_CNT: 0
	.section	.text._ZN12_GLOBAL__N_141elementwise_kernel_with_index_grid_strideIiZZZN2at6native17logspace_cuda_outERKN3c106ScalarES6_ldRNS1_6TensorEENKUlvE0_clEvENKUlvE_clEvEUllE_EEvT_T0_PN15function_traitsISD_E11result_typeE,"axG",@progbits,_ZN12_GLOBAL__N_141elementwise_kernel_with_index_grid_strideIiZZZN2at6native17logspace_cuda_outERKN3c106ScalarES6_ldRNS1_6TensorEENKUlvE0_clEvENKUlvE_clEvEUllE_EEvT_T0_PN15function_traitsISD_E11result_typeE,comdat
	.globl	_ZN12_GLOBAL__N_141elementwise_kernel_with_index_grid_strideIiZZZN2at6native17logspace_cuda_outERKN3c106ScalarES6_ldRNS1_6TensorEENKUlvE0_clEvENKUlvE_clEvEUllE_EEvT_T0_PN15function_traitsISD_E11result_typeE ; -- Begin function _ZN12_GLOBAL__N_141elementwise_kernel_with_index_grid_strideIiZZZN2at6native17logspace_cuda_outERKN3c106ScalarES6_ldRNS1_6TensorEENKUlvE0_clEvENKUlvE_clEvEUllE_EEvT_T0_PN15function_traitsISD_E11result_typeE
	.p2align	8
	.type	_ZN12_GLOBAL__N_141elementwise_kernel_with_index_grid_strideIiZZZN2at6native17logspace_cuda_outERKN3c106ScalarES6_ldRNS1_6TensorEENKUlvE0_clEvENKUlvE_clEvEUllE_EEvT_T0_PN15function_traitsISD_E11result_typeE,@function
_ZN12_GLOBAL__N_141elementwise_kernel_with_index_grid_strideIiZZZN2at6native17logspace_cuda_outERKN3c106ScalarES6_ldRNS1_6TensorEENKUlvE0_clEvENKUlvE_clEvEUllE_EEvT_T0_PN15function_traitsISD_E11result_typeE: ; @_ZN12_GLOBAL__N_141elementwise_kernel_with_index_grid_strideIiZZZN2at6native17logspace_cuda_outERKN3c106ScalarES6_ldRNS1_6TensorEENKUlvE0_clEvENKUlvE_clEvEUllE_EEvT_T0_PN15function_traitsISD_E11result_typeE
; %bb.0:
	s_clause 0x1
	s_load_dword s2, s[4:5], 0x4c
	s_load_dword s33, s[4:5], 0x0
	s_add_u32 s0, s4, 64
	s_addc_u32 s1, s5, 0
	s_mov_b32 s3, exec_lo
	s_waitcnt lgkmcnt(0)
	s_and_b32 s2, s2, 0xffff
	v_mad_u64_u32 v[0:1], null, s6, s2, v[0:1]
	v_cmpx_gt_i32_e64 s33, v0
	s_cbranch_execz .LBB32_7
; %bb.1:
	s_load_dword s3, s[0:1], 0x0
	s_clause 0x2
	s_load_dwordx8 s[8:15], s[4:5], 0x8
	s_load_dwordx2 s[0:1], s[4:5], 0x38
	s_load_dwordx4 s[4:7], s[4:5], 0x28
	v_ashrrev_i32_e32 v1, 31, v0
	v_not_b32_e32 v4, v0
	s_mov_b32 s16, 0x55555555
	s_mov_b32 s18, 0x55555555
	;; [unrolled: 1-line block ×3, first 2 shown]
	v_lshlrev_b64 v[2:3], 3, v[0:1]
	v_not_b32_e32 v5, v1
	s_mov_b32 s24, 0x4222de17
	s_mov_b32 s26, 0x3abe935a
	;; [unrolled: 1-line block ×9, first 2 shown]
	s_waitcnt lgkmcnt(0)
	s_mul_i32 s20, s3, s2
	v_cmp_eq_f64_e64 s75, s[12:13], 1.0
	v_add_co_u32 v6, vcc_lo, v4, s14
	v_add_co_ci_u32_e64 v7, null, s15, v5, vcc_lo
	v_add_co_u32 v2, vcc_lo, s0, v2
	v_add_co_ci_u32_e64 v3, null, s1, v3, vcc_lo
	v_mov_b32_e32 v8, s13
	s_ashr_i32 s21, s20, 31
	s_mov_b32 s44, 0xfefa39ef
	s_mov_b32 s46, 0x3b39803f
	;; [unrolled: 1-line block ×17, first 2 shown]
	s_lshl_b64 s[14:15], s[20:21], 3
	s_mov_b32 s23, 0x3fba6564
	s_mov_b32 s25, 0x3fbdee67
	;; [unrolled: 1-line block ×25, first 2 shown]
	s_branch .LBB32_3
.LBB32_2:                               ;   in Loop: Header=BB32_3 Depth=1
	s_or_b32 exec_lo, exec_lo, s0
	v_cndmask_b32_e64 v5, v5, 0x3ff00000, s75
	v_cndmask_b32_e64 v4, v4, 0, s75
	s_mov_b32 s52, s46
	v_cmp_neq_f64_e32 vcc_lo, 0, v[4:5]
	v_cmp_neq_f64_e64 s3, v[4:5], |v[4:5]|
	v_cndmask_b32_e32 v10, 0x3ff00000, v8, vcc_lo
	v_cndmask_b32_e64 v9, 0, s12, vcc_lo
	v_frexp_mant_f64_e64 v[11:12], |v[9:10]|
	v_cmp_lt_f64_e64 s13, |v[9:10]|, 1.0
	v_cmp_eq_f64_e64 s2, 0, v[9:10]
	v_cmp_gt_f64_e32 vcc_lo, s[16:17], v[11:12]
	s_xor_b32 s3, s3, s13
	v_cmp_class_f64_e64 s13, v[9:10], 0x204
	v_cndmask_b32_e64 v13, 0, 1, vcc_lo
	v_ldexp_f64 v[11:12], v[11:12], v13
	v_add_f64 v[13:14], v[11:12], 1.0
	v_add_f64 v[19:20], v[11:12], -1.0
	v_rcp_f64_e32 v[15:16], v[13:14]
	v_add_f64 v[21:22], v[13:14], -1.0
	v_add_f64 v[11:12], v[11:12], -v[21:22]
	v_fma_f64 v[17:18], -v[13:14], v[15:16], 1.0
	v_fma_f64 v[15:16], v[17:18], v[15:16], v[15:16]
	v_fma_f64 v[17:18], -v[13:14], v[15:16], 1.0
	v_fma_f64 v[15:16], v[17:18], v[15:16], v[15:16]
	v_mul_f64 v[17:18], v[19:20], v[15:16]
	v_mul_f64 v[23:24], v[13:14], v[17:18]
	v_fma_f64 v[13:14], v[17:18], v[13:14], -v[23:24]
	v_fma_f64 v[11:12], v[17:18], v[11:12], v[13:14]
	v_add_f64 v[13:14], v[23:24], v[11:12]
	v_add_f64 v[21:22], v[19:20], -v[13:14]
	v_add_f64 v[23:24], v[13:14], -v[23:24]
	;; [unrolled: 1-line block ×5, first 2 shown]
	v_add_f64 v[11:12], v[11:12], v[13:14]
	v_add_f64 v[11:12], v[21:22], v[11:12]
	v_mul_f64 v[11:12], v[15:16], v[11:12]
	v_add_f64 v[13:14], v[17:18], v[11:12]
	v_add_f64 v[15:16], v[13:14], -v[17:18]
	v_mul_f64 v[17:18], v[13:14], v[13:14]
	v_add_f64 v[11:12], v[11:12], -v[15:16]
	v_fma_f64 v[15:16], v[13:14], v[13:14], -v[17:18]
	v_add_f64 v[19:20], v[11:12], v[11:12]
	v_fma_f64 v[15:16], v[13:14], v[19:20], v[15:16]
	v_add_f64 v[19:20], v[17:18], v[15:16]
	v_fma_f64 v[21:22], v[19:20], s[24:25], s[22:23]
	v_add_f64 v[17:18], v[19:20], -v[17:18]
	v_mul_f64 v[27:28], v[13:14], v[19:20]
	v_fma_f64 v[21:22], v[19:20], v[21:22], s[26:27]
	v_add_f64 v[15:16], v[15:16], -v[17:18]
	v_fma_f64 v[21:22], v[19:20], v[21:22], s[28:29]
	v_fma_f64 v[21:22], v[19:20], v[21:22], s[30:31]
	;; [unrolled: 1-line block ×6, first 2 shown]
	v_mul_f64 v[23:24], v[19:20], v[21:22]
	v_fma_f64 v[17:18], v[19:20], v[21:22], -v[23:24]
	v_fma_f64 v[17:18], v[15:16], v[21:22], v[17:18]
	v_add_f64 v[21:22], v[23:24], v[17:18]
	v_add_f64 v[25:26], v[21:22], s[16:17]
	v_add_f64 v[23:24], v[21:22], -v[23:24]
	v_add_f64 v[29:30], v[25:26], s[18:19]
	v_add_f64 v[17:18], v[17:18], -v[23:24]
	v_fma_f64 v[23:24], v[19:20], v[13:14], -v[27:28]
	v_add_f64 v[21:22], v[21:22], -v[29:30]
	v_add_f64 v[17:18], v[17:18], s[48:49]
	v_fma_f64 v[19:20], v[19:20], v[11:12], v[23:24]
	v_ldexp_f64 v[11:12], v[11:12], 1
	v_add_f64 v[17:18], v[17:18], v[21:22]
	v_fma_f64 v[15:16], v[15:16], v[13:14], v[19:20]
	v_ldexp_f64 v[13:14], v[13:14], 1
	v_add_f64 v[19:20], v[25:26], v[17:18]
	v_add_f64 v[21:22], v[27:28], v[15:16]
	v_add_f64 v[23:24], v[25:26], -v[19:20]
	v_mul_f64 v[25:26], v[21:22], v[19:20]
	v_add_f64 v[27:28], v[21:22], -v[27:28]
	v_add_f64 v[17:18], v[17:18], v[23:24]
	v_fma_f64 v[23:24], v[21:22], v[19:20], -v[25:26]
	v_add_f64 v[15:16], v[15:16], -v[27:28]
	v_fma_f64 v[17:18], v[21:22], v[17:18], v[23:24]
	v_fma_f64 v[15:16], v[15:16], v[19:20], v[17:18]
	v_frexp_exp_i32_f64_e32 v19, v[9:10]
	v_add_f64 v[17:18], v[25:26], v[15:16]
	v_subrev_co_ci_u32_e64 v19, null, 0, v19, vcc_lo
	v_cvt_f64_i32_e32 v[19:20], v19
	v_add_f64 v[21:22], v[13:14], v[17:18]
	v_add_f64 v[23:24], v[17:18], -v[25:26]
	v_mul_f64 v[25:26], v[19:20], s[42:43]
	v_add_f64 v[13:14], v[21:22], -v[13:14]
	v_add_f64 v[15:16], v[15:16], -v[23:24]
	v_fma_f64 v[23:24], v[19:20], s[42:43], -v[25:26]
	v_add_f64 v[13:14], v[17:18], -v[13:14]
	v_add_f64 v[11:12], v[11:12], v[15:16]
	v_fma_f64 v[15:16], v[19:20], s[46:47], v[23:24]
	v_add_f64 v[11:12], v[11:12], v[13:14]
	v_add_f64 v[13:14], v[25:26], v[15:16]
	;; [unrolled: 1-line block ×3, first 2 shown]
	v_add_f64 v[25:26], v[13:14], -v[25:26]
	v_add_f64 v[19:20], v[13:14], v[17:18]
	v_add_f64 v[21:22], v[17:18], -v[21:22]
	v_add_f64 v[15:16], v[15:16], -v[25:26]
	;; [unrolled: 1-line block ×6, first 2 shown]
	v_add_f64 v[21:22], v[15:16], v[11:12]
	v_add_f64 v[13:14], v[13:14], -v[27:28]
	v_add_f64 v[13:14], v[17:18], v[13:14]
	v_add_f64 v[17:18], v[21:22], -v[15:16]
	;; [unrolled: 2-line block ×3, first 2 shown]
	v_add_f64 v[11:12], v[11:12], -v[17:18]
	v_add_f64 v[23:24], v[19:20], v[13:14]
	v_add_f64 v[15:16], v[15:16], -v[21:22]
	v_add_f64 v[17:18], v[23:24], -v[19:20]
	v_add_f64 v[11:12], v[11:12], v[15:16]
	v_add_f64 v[13:14], v[13:14], -v[17:18]
	v_add_f64 v[11:12], v[11:12], v[13:14]
	v_add_f64 v[13:14], v[23:24], v[11:12]
	v_add_f64 v[15:16], v[13:14], -v[23:24]
	v_mul_f64 v[17:18], v[4:5], v[13:14]
	v_add_f64 v[11:12], v[11:12], -v[15:16]
	v_fma_f64 v[13:14], v[4:5], v[13:14], -v[17:18]
	v_cmp_class_f64_e64 vcc_lo, v[17:18], 0x204
	v_fma_f64 v[11:12], v[4:5], v[11:12], v[13:14]
	v_add_f64 v[13:14], v[17:18], v[11:12]
	v_cndmask_b32_e32 v16, v14, v18, vcc_lo
	v_cndmask_b32_e32 v15, v13, v17, vcc_lo
	v_add_f64 v[13:14], v[13:14], -v[17:18]
	v_mul_f64 v[19:20], v[15:16], s[50:51]
	v_cmp_nlt_f64_e64 s0, 0x40900000, v[15:16]
	v_cmp_neq_f64_e64 vcc_lo, 0x7ff00000, |v[15:16]|
	v_cmp_ngt_f64_e64 s1, 0xc090cc00, v[15:16]
	v_add_f64 v[11:12], v[11:12], -v[13:14]
	v_trunc_f64_e32 v[13:14], v[4:5]
	v_rndne_f64_e32 v[19:20], v[19:20]
	v_cndmask_b32_e32 v12, 0, v12, vcc_lo
	v_cndmask_b32_e32 v11, 0, v11, vcc_lo
	s_and_b32 vcc_lo, s1, s0
	v_fma_f64 v[21:22], v[19:20], s[44:45], v[15:16]
	v_cvt_i32_f64_e32 v25, v[19:20]
	v_fma_f64 v[21:22], v[19:20], s[52:53], v[21:22]
	v_fma_f64 v[23:24], v[21:22], s[56:57], s[54:55]
	;; [unrolled: 1-line block ×10, first 2 shown]
	v_fma_f64 v[23:24], v[21:22], v[23:24], 1.0
	v_fma_f64 v[19:20], v[21:22], v[23:24], 1.0
	v_ldexp_f64 v[17:18], v[19:20], v25
	v_mul_f64 v[19:20], v[4:5], 0.5
	v_cndmask_b32_e64 v18, 0x7ff00000, v18, s0
	v_trunc_f64_e32 v[15:16], v[19:20]
	v_cndmask_b32_e32 v17, 0, v17, vcc_lo
	v_cmp_eq_f64_e32 vcc_lo, v[13:14], v[4:5]
	v_cndmask_b32_e64 v18, 0, v18, s1
	v_fma_f64 v[11:12], v[17:18], v[11:12], v[17:18]
	v_cmp_class_f64_e64 s1, v[17:18], 0x204
	v_cmp_neq_f64_e64 s0, v[15:16], v[19:20]
	v_cndmask_b32_e64 v15, 0x7ff00000, 0, s3
	v_cmp_neq_f64_e64 s3, |v[9:10]|, 1.0
	v_cndmask_b32_e64 v12, v12, v18, s1
	v_cndmask_b32_e64 v11, v11, v17, s1
	v_cmp_gt_f64_e64 s1, 0, v[4:5]
	v_cndmask_b32_e32 v14, 0, v11, vcc_lo
	s_and_b32 s0, vcc_lo, s0
	v_cndmask_b32_e64 v13, 0x3ff00000, v10, s0
	v_cndmask_b32_e64 v15, 0x3ff00000, v15, s3
	v_bfi_b32 v12, 0x7fffffff, v12, v13
	v_cndmask_b32_e32 v13, 0x7ff80000, v12, vcc_lo
	v_cmp_gt_f64_e32 vcc_lo, 0, v[9:10]
	s_xor_b32 s1, s1, s2
	v_cndmask_b32_e32 v11, v11, v14, vcc_lo
	v_cndmask_b32_e32 v12, v12, v13, vcc_lo
	v_cmp_class_f64_e64 vcc_lo, v[4:5], 0x204
	v_cndmask_b32_e64 v13, 0x7ff00000, 0, s1
	v_cndmask_b32_e64 v14, 0, v10, s0
	s_or_b32 s0, s2, s13
	v_bfi_b32 v13, 0x7fffffff, v13, v14
	v_cndmask_b32_e32 v12, v12, v15, vcc_lo
	v_cndmask_b32_e64 v12, v12, v13, s0
	s_or_b32 s0, s0, vcc_lo
	v_cmp_o_f64_e32 vcc_lo, v[9:10], v[4:5]
	v_cndmask_b32_e64 v11, v11, 0, s0
	v_add_co_u32 v0, s0, v0, s20
	v_add_co_ci_u32_e64 v1, null, s21, v1, s0
	v_cndmask_b32_e32 v4, 0, v11, vcc_lo
	v_cndmask_b32_e32 v5, 0x7ff80000, v12, vcc_lo
	v_sub_co_u32 v6, vcc_lo, v6, s20
	v_subrev_co_ci_u32_e64 v7, null, s21, v7, vcc_lo
	v_cmp_le_i32_e32 vcc_lo, s33, v0
	global_store_dwordx2 v[2:3], v[4:5], off
	v_add_co_u32 v2, s0, v2, s14
	v_add_co_ci_u32_e64 v3, null, s15, v3, s0
	s_or_b32 s74, vcc_lo, s74
	s_andn2_b32 exec_lo, exec_lo, s74
	s_cbranch_execz .LBB32_7
.LBB32_3:                               ; =>This Inner Loop Header: Depth=1
	s_mov_b32 s0, exec_lo
                                        ; implicit-def: $vgpr4_vgpr5
	v_cmpx_le_i64_e64 s[6:7], v[0:1]
	s_xor_b32 s0, exec_lo, s0
	s_cbranch_execz .LBB32_5
; %bb.4:                                ;   in Loop: Header=BB32_3 Depth=1
	v_cvt_f64_i32_e32 v[4:5], v7
	v_cvt_f64_u32_e32 v[9:10], v6
	v_ldexp_f64 v[4:5], v[4:5], 32
	v_add_f64 v[4:5], v[4:5], v[9:10]
	v_fma_f64 v[4:5], -s[4:5], v[4:5], s[10:11]
.LBB32_5:                               ;   in Loop: Header=BB32_3 Depth=1
	s_andn2_saveexec_b32 s0, s0
	s_cbranch_execz .LBB32_2
; %bb.6:                                ;   in Loop: Header=BB32_3 Depth=1
	v_cvt_f64_i32_e32 v[4:5], v0
	v_fma_f64 v[4:5], s[4:5], v[4:5], s[8:9]
	s_branch .LBB32_2
.LBB32_7:
	s_endpgm
	.section	.rodata,"a",@progbits
	.p2align	6, 0x0
	.amdhsa_kernel _ZN12_GLOBAL__N_141elementwise_kernel_with_index_grid_strideIiZZZN2at6native17logspace_cuda_outERKN3c106ScalarES6_ldRNS1_6TensorEENKUlvE0_clEvENKUlvE_clEvEUllE_EEvT_T0_PN15function_traitsISD_E11result_typeE
		.amdhsa_group_segment_fixed_size 0
		.amdhsa_private_segment_fixed_size 0
		.amdhsa_kernarg_size 320
		.amdhsa_user_sgpr_count 6
		.amdhsa_user_sgpr_private_segment_buffer 1
		.amdhsa_user_sgpr_dispatch_ptr 0
		.amdhsa_user_sgpr_queue_ptr 0
		.amdhsa_user_sgpr_kernarg_segment_ptr 1
		.amdhsa_user_sgpr_dispatch_id 0
		.amdhsa_user_sgpr_flat_scratch_init 0
		.amdhsa_user_sgpr_private_segment_size 0
		.amdhsa_wavefront_size32 1
		.amdhsa_uses_dynamic_stack 0
		.amdhsa_system_sgpr_private_segment_wavefront_offset 0
		.amdhsa_system_sgpr_workgroup_id_x 1
		.amdhsa_system_sgpr_workgroup_id_y 0
		.amdhsa_system_sgpr_workgroup_id_z 0
		.amdhsa_system_sgpr_workgroup_info 0
		.amdhsa_system_vgpr_workitem_id 0
		.amdhsa_next_free_vgpr 31
		.amdhsa_next_free_sgpr 76
		.amdhsa_reserve_vcc 1
		.amdhsa_reserve_flat_scratch 0
		.amdhsa_float_round_mode_32 0
		.amdhsa_float_round_mode_16_64 0
		.amdhsa_float_denorm_mode_32 3
		.amdhsa_float_denorm_mode_16_64 3
		.amdhsa_dx10_clamp 1
		.amdhsa_ieee_mode 1
		.amdhsa_fp16_overflow 0
		.amdhsa_workgroup_processor_mode 1
		.amdhsa_memory_ordered 1
		.amdhsa_forward_progress 1
		.amdhsa_shared_vgpr_count 0
		.amdhsa_exception_fp_ieee_invalid_op 0
		.amdhsa_exception_fp_denorm_src 0
		.amdhsa_exception_fp_ieee_div_zero 0
		.amdhsa_exception_fp_ieee_overflow 0
		.amdhsa_exception_fp_ieee_underflow 0
		.amdhsa_exception_fp_ieee_inexact 0
		.amdhsa_exception_int_div_zero 0
	.end_amdhsa_kernel
	.section	.text._ZN12_GLOBAL__N_141elementwise_kernel_with_index_grid_strideIiZZZN2at6native17logspace_cuda_outERKN3c106ScalarES6_ldRNS1_6TensorEENKUlvE0_clEvENKUlvE_clEvEUllE_EEvT_T0_PN15function_traitsISD_E11result_typeE,"axG",@progbits,_ZN12_GLOBAL__N_141elementwise_kernel_with_index_grid_strideIiZZZN2at6native17logspace_cuda_outERKN3c106ScalarES6_ldRNS1_6TensorEENKUlvE0_clEvENKUlvE_clEvEUllE_EEvT_T0_PN15function_traitsISD_E11result_typeE,comdat
.Lfunc_end32:
	.size	_ZN12_GLOBAL__N_141elementwise_kernel_with_index_grid_strideIiZZZN2at6native17logspace_cuda_outERKN3c106ScalarES6_ldRNS1_6TensorEENKUlvE0_clEvENKUlvE_clEvEUllE_EEvT_T0_PN15function_traitsISD_E11result_typeE, .Lfunc_end32-_ZN12_GLOBAL__N_141elementwise_kernel_with_index_grid_strideIiZZZN2at6native17logspace_cuda_outERKN3c106ScalarES6_ldRNS1_6TensorEENKUlvE0_clEvENKUlvE_clEvEUllE_EEvT_T0_PN15function_traitsISD_E11result_typeE
                                        ; -- End function
	.set _ZN12_GLOBAL__N_141elementwise_kernel_with_index_grid_strideIiZZZN2at6native17logspace_cuda_outERKN3c106ScalarES6_ldRNS1_6TensorEENKUlvE0_clEvENKUlvE_clEvEUllE_EEvT_T0_PN15function_traitsISD_E11result_typeE.num_vgpr, 31
	.set _ZN12_GLOBAL__N_141elementwise_kernel_with_index_grid_strideIiZZZN2at6native17logspace_cuda_outERKN3c106ScalarES6_ldRNS1_6TensorEENKUlvE0_clEvENKUlvE_clEvEUllE_EEvT_T0_PN15function_traitsISD_E11result_typeE.num_agpr, 0
	.set _ZN12_GLOBAL__N_141elementwise_kernel_with_index_grid_strideIiZZZN2at6native17logspace_cuda_outERKN3c106ScalarES6_ldRNS1_6TensorEENKUlvE0_clEvENKUlvE_clEvEUllE_EEvT_T0_PN15function_traitsISD_E11result_typeE.numbered_sgpr, 76
	.set _ZN12_GLOBAL__N_141elementwise_kernel_with_index_grid_strideIiZZZN2at6native17logspace_cuda_outERKN3c106ScalarES6_ldRNS1_6TensorEENKUlvE0_clEvENKUlvE_clEvEUllE_EEvT_T0_PN15function_traitsISD_E11result_typeE.num_named_barrier, 0
	.set _ZN12_GLOBAL__N_141elementwise_kernel_with_index_grid_strideIiZZZN2at6native17logspace_cuda_outERKN3c106ScalarES6_ldRNS1_6TensorEENKUlvE0_clEvENKUlvE_clEvEUllE_EEvT_T0_PN15function_traitsISD_E11result_typeE.private_seg_size, 0
	.set _ZN12_GLOBAL__N_141elementwise_kernel_with_index_grid_strideIiZZZN2at6native17logspace_cuda_outERKN3c106ScalarES6_ldRNS1_6TensorEENKUlvE0_clEvENKUlvE_clEvEUllE_EEvT_T0_PN15function_traitsISD_E11result_typeE.uses_vcc, 1
	.set _ZN12_GLOBAL__N_141elementwise_kernel_with_index_grid_strideIiZZZN2at6native17logspace_cuda_outERKN3c106ScalarES6_ldRNS1_6TensorEENKUlvE0_clEvENKUlvE_clEvEUllE_EEvT_T0_PN15function_traitsISD_E11result_typeE.uses_flat_scratch, 0
	.set _ZN12_GLOBAL__N_141elementwise_kernel_with_index_grid_strideIiZZZN2at6native17logspace_cuda_outERKN3c106ScalarES6_ldRNS1_6TensorEENKUlvE0_clEvENKUlvE_clEvEUllE_EEvT_T0_PN15function_traitsISD_E11result_typeE.has_dyn_sized_stack, 0
	.set _ZN12_GLOBAL__N_141elementwise_kernel_with_index_grid_strideIiZZZN2at6native17logspace_cuda_outERKN3c106ScalarES6_ldRNS1_6TensorEENKUlvE0_clEvENKUlvE_clEvEUllE_EEvT_T0_PN15function_traitsISD_E11result_typeE.has_recursion, 0
	.set _ZN12_GLOBAL__N_141elementwise_kernel_with_index_grid_strideIiZZZN2at6native17logspace_cuda_outERKN3c106ScalarES6_ldRNS1_6TensorEENKUlvE0_clEvENKUlvE_clEvEUllE_EEvT_T0_PN15function_traitsISD_E11result_typeE.has_indirect_call, 0
	.section	.AMDGPU.csdata,"",@progbits
; Kernel info:
; codeLenInByte = 2236
; TotalNumSgprs: 78
; NumVgprs: 31
; ScratchSize: 0
; MemoryBound: 0
; FloatMode: 240
; IeeeMode: 1
; LDSByteSize: 0 bytes/workgroup (compile time only)
; SGPRBlocks: 0
; VGPRBlocks: 3
; NumSGPRsForWavesPerEU: 78
; NumVGPRsForWavesPerEU: 31
; Occupancy: 16
; WaveLimiterHint : 0
; COMPUTE_PGM_RSRC2:SCRATCH_EN: 0
; COMPUTE_PGM_RSRC2:USER_SGPR: 6
; COMPUTE_PGM_RSRC2:TRAP_HANDLER: 0
; COMPUTE_PGM_RSRC2:TGID_X_EN: 1
; COMPUTE_PGM_RSRC2:TGID_Y_EN: 0
; COMPUTE_PGM_RSRC2:TGID_Z_EN: 0
; COMPUTE_PGM_RSRC2:TIDIG_COMP_CNT: 0
	.section	.text._ZN12_GLOBAL__N_141elementwise_kernel_with_index_grid_strideIlZZZN2at6native17logspace_cuda_outERKN3c106ScalarES6_ldRNS1_6TensorEENKUlvE0_clEvENKUlvE_clEvEUllE_EEvT_T0_PN15function_traitsISD_E11result_typeE,"axG",@progbits,_ZN12_GLOBAL__N_141elementwise_kernel_with_index_grid_strideIlZZZN2at6native17logspace_cuda_outERKN3c106ScalarES6_ldRNS1_6TensorEENKUlvE0_clEvENKUlvE_clEvEUllE_EEvT_T0_PN15function_traitsISD_E11result_typeE,comdat
	.globl	_ZN12_GLOBAL__N_141elementwise_kernel_with_index_grid_strideIlZZZN2at6native17logspace_cuda_outERKN3c106ScalarES6_ldRNS1_6TensorEENKUlvE0_clEvENKUlvE_clEvEUllE_EEvT_T0_PN15function_traitsISD_E11result_typeE ; -- Begin function _ZN12_GLOBAL__N_141elementwise_kernel_with_index_grid_strideIlZZZN2at6native17logspace_cuda_outERKN3c106ScalarES6_ldRNS1_6TensorEENKUlvE0_clEvENKUlvE_clEvEUllE_EEvT_T0_PN15function_traitsISD_E11result_typeE
	.p2align	8
	.type	_ZN12_GLOBAL__N_141elementwise_kernel_with_index_grid_strideIlZZZN2at6native17logspace_cuda_outERKN3c106ScalarES6_ldRNS1_6TensorEENKUlvE0_clEvENKUlvE_clEvEUllE_EEvT_T0_PN15function_traitsISD_E11result_typeE,@function
_ZN12_GLOBAL__N_141elementwise_kernel_with_index_grid_strideIlZZZN2at6native17logspace_cuda_outERKN3c106ScalarES6_ldRNS1_6TensorEENKUlvE0_clEvENKUlvE_clEvEUllE_EEvT_T0_PN15function_traitsISD_E11result_typeE: ; @_ZN12_GLOBAL__N_141elementwise_kernel_with_index_grid_strideIlZZZN2at6native17logspace_cuda_outERKN3c106ScalarES6_ldRNS1_6TensorEENKUlvE0_clEvENKUlvE_clEvEUllE_EEvT_T0_PN15function_traitsISD_E11result_typeE
; %bb.0:
	s_clause 0x1
	s_load_dword s2, s[4:5], 0x4c
	s_load_dwordx16 s[8:23], s[4:5], 0x0
	v_mov_b32_e32 v1, 0
	s_add_u32 s0, s4, 64
	s_addc_u32 s1, s5, 0
	s_mov_b32 s3, exec_lo
	s_waitcnt lgkmcnt(0)
	s_and_b32 s2, s2, 0xffff
	v_mad_u64_u32 v[0:1], null, s2, s6, v[0:1]
	v_cmpx_gt_i64_e64 s[8:9], v[0:1]
	s_cbranch_execz .LBB33_7
; %bb.1:
	s_load_dword s0, s[0:1], 0x0
	v_cmp_eq_f64_e64 s76, s[14:15], 1.0
	v_not_b32_e32 v5, v0
	v_lshlrev_b64 v[2:3], 3, v[0:1]
	v_not_b32_e32 v4, v1
	v_mov_b32_e32 v6, s15
	s_mov_b32 s4, 0x55555555
	v_add_co_u32 v7, vcc_lo, v5, s16
	v_add_co_ci_u32_e64 v8, null, s17, v4, vcc_lo
	v_add_co_u32 v2, vcc_lo, s22, v2
	v_add_co_ci_u32_e64 v3, null, s23, v3, vcc_lo
	s_mov_b32 s6, 0x55555555
	s_mov_b32 s24, 0x968915a9
	;; [unrolled: 1-line block ×5, first 2 shown]
	s_waitcnt lgkmcnt(0)
	s_mul_hi_u32 s17, s2, s0
	s_mul_i32 s16, s2, s0
	s_mov_b32 s34, 0xcfa74449
	s_mov_b32 s36, 0x71bf3c30
	;; [unrolled: 1-line block ×23, first 2 shown]
	s_lshl_b64 s[22:23], s[16:17], 3
	s_mov_b32 s27, 0x3fbdee67
	s_mov_b32 s29, 0x3fbe25e4
	;; [unrolled: 1-line block ×24, first 2 shown]
	s_branch .LBB33_3
.LBB33_2:                               ;   in Loop: Header=BB33_3 Depth=1
	s_or_b32 exec_lo, exec_lo, s0
	v_cndmask_b32_e64 v5, v5, 0x3ff00000, s76
	v_cndmask_b32_e64 v4, v4, 0, s76
	s_mov_b32 s52, s44
	s_mov_b32 s54, s46
	v_cmp_neq_f64_e32 vcc_lo, 0, v[4:5]
	v_cmp_neq_f64_e64 s3, v[4:5], |v[4:5]|
	v_cndmask_b32_e32 v10, 0x3ff00000, v6, vcc_lo
	v_cndmask_b32_e64 v9, 0, s14, vcc_lo
	v_frexp_mant_f64_e64 v[11:12], |v[9:10]|
	v_cmp_lt_f64_e64 s15, |v[9:10]|, 1.0
	v_cmp_eq_f64_e64 s2, 0, v[9:10]
	v_cmp_gt_f64_e32 vcc_lo, s[4:5], v[11:12]
	s_xor_b32 s3, s3, s15
	v_cmp_class_f64_e64 s15, v[9:10], 0x204
	v_cndmask_b32_e64 v13, 0, 1, vcc_lo
	v_ldexp_f64 v[11:12], v[11:12], v13
	v_add_f64 v[13:14], v[11:12], 1.0
	v_add_f64 v[19:20], v[11:12], -1.0
	v_rcp_f64_e32 v[15:16], v[13:14]
	v_add_f64 v[21:22], v[13:14], -1.0
	v_add_f64 v[11:12], v[11:12], -v[21:22]
	v_fma_f64 v[17:18], -v[13:14], v[15:16], 1.0
	v_fma_f64 v[15:16], v[17:18], v[15:16], v[15:16]
	v_fma_f64 v[17:18], -v[13:14], v[15:16], 1.0
	v_fma_f64 v[15:16], v[17:18], v[15:16], v[15:16]
	v_mul_f64 v[17:18], v[19:20], v[15:16]
	v_mul_f64 v[23:24], v[13:14], v[17:18]
	v_fma_f64 v[13:14], v[17:18], v[13:14], -v[23:24]
	v_fma_f64 v[11:12], v[17:18], v[11:12], v[13:14]
	v_add_f64 v[13:14], v[23:24], v[11:12]
	v_add_f64 v[21:22], v[19:20], -v[13:14]
	v_add_f64 v[23:24], v[13:14], -v[23:24]
	;; [unrolled: 1-line block ×5, first 2 shown]
	v_add_f64 v[11:12], v[11:12], v[13:14]
	v_add_f64 v[11:12], v[21:22], v[11:12]
	v_mul_f64 v[11:12], v[15:16], v[11:12]
	v_add_f64 v[13:14], v[17:18], v[11:12]
	v_add_f64 v[15:16], v[13:14], -v[17:18]
	v_mul_f64 v[17:18], v[13:14], v[13:14]
	v_add_f64 v[11:12], v[11:12], -v[15:16]
	v_fma_f64 v[15:16], v[13:14], v[13:14], -v[17:18]
	v_add_f64 v[19:20], v[11:12], v[11:12]
	v_fma_f64 v[15:16], v[13:14], v[19:20], v[15:16]
	v_add_f64 v[19:20], v[17:18], v[15:16]
	v_fma_f64 v[21:22], v[19:20], s[26:27], s[24:25]
	v_add_f64 v[17:18], v[19:20], -v[17:18]
	v_mul_f64 v[27:28], v[13:14], v[19:20]
	v_fma_f64 v[21:22], v[19:20], v[21:22], s[28:29]
	v_add_f64 v[15:16], v[15:16], -v[17:18]
	v_fma_f64 v[21:22], v[19:20], v[21:22], s[30:31]
	v_fma_f64 v[21:22], v[19:20], v[21:22], s[34:35]
	;; [unrolled: 1-line block ×6, first 2 shown]
	v_mul_f64 v[23:24], v[19:20], v[21:22]
	v_fma_f64 v[17:18], v[19:20], v[21:22], -v[23:24]
	v_fma_f64 v[17:18], v[15:16], v[21:22], v[17:18]
	v_add_f64 v[21:22], v[23:24], v[17:18]
	v_add_f64 v[25:26], v[21:22], s[4:5]
	v_add_f64 v[23:24], v[21:22], -v[23:24]
	v_add_f64 v[29:30], v[25:26], s[6:7]
	v_add_f64 v[17:18], v[17:18], -v[23:24]
	v_fma_f64 v[23:24], v[19:20], v[13:14], -v[27:28]
	v_add_f64 v[21:22], v[21:22], -v[29:30]
	v_add_f64 v[17:18], v[17:18], s[48:49]
	v_fma_f64 v[19:20], v[19:20], v[11:12], v[23:24]
	v_ldexp_f64 v[11:12], v[11:12], 1
	v_add_f64 v[17:18], v[17:18], v[21:22]
	v_fma_f64 v[15:16], v[15:16], v[13:14], v[19:20]
	v_ldexp_f64 v[13:14], v[13:14], 1
	v_add_f64 v[19:20], v[25:26], v[17:18]
	v_add_f64 v[21:22], v[27:28], v[15:16]
	v_add_f64 v[23:24], v[25:26], -v[19:20]
	v_mul_f64 v[25:26], v[21:22], v[19:20]
	v_add_f64 v[27:28], v[21:22], -v[27:28]
	v_add_f64 v[17:18], v[17:18], v[23:24]
	v_fma_f64 v[23:24], v[21:22], v[19:20], -v[25:26]
	v_add_f64 v[15:16], v[15:16], -v[27:28]
	v_fma_f64 v[17:18], v[21:22], v[17:18], v[23:24]
	v_fma_f64 v[15:16], v[15:16], v[19:20], v[17:18]
	v_frexp_exp_i32_f64_e32 v19, v[9:10]
	v_add_f64 v[17:18], v[25:26], v[15:16]
	v_subrev_co_ci_u32_e64 v19, null, 0, v19, vcc_lo
	v_cvt_f64_i32_e32 v[19:20], v19
	v_add_f64 v[21:22], v[13:14], v[17:18]
	v_add_f64 v[23:24], v[17:18], -v[25:26]
	v_mul_f64 v[25:26], v[19:20], s[44:45]
	v_add_f64 v[13:14], v[21:22], -v[13:14]
	v_add_f64 v[15:16], v[15:16], -v[23:24]
	v_fma_f64 v[23:24], v[19:20], s[44:45], -v[25:26]
	v_add_f64 v[13:14], v[17:18], -v[13:14]
	v_add_f64 v[11:12], v[11:12], v[15:16]
	v_fma_f64 v[15:16], v[19:20], s[46:47], v[23:24]
	v_add_f64 v[11:12], v[11:12], v[13:14]
	v_add_f64 v[13:14], v[25:26], v[15:16]
	;; [unrolled: 1-line block ×3, first 2 shown]
	v_add_f64 v[25:26], v[13:14], -v[25:26]
	v_add_f64 v[19:20], v[13:14], v[17:18]
	v_add_f64 v[21:22], v[17:18], -v[21:22]
	v_add_f64 v[15:16], v[15:16], -v[25:26]
	;; [unrolled: 1-line block ×6, first 2 shown]
	v_add_f64 v[21:22], v[15:16], v[11:12]
	v_add_f64 v[13:14], v[13:14], -v[27:28]
	v_add_f64 v[13:14], v[17:18], v[13:14]
	v_add_f64 v[17:18], v[21:22], -v[15:16]
	;; [unrolled: 2-line block ×3, first 2 shown]
	v_add_f64 v[11:12], v[11:12], -v[17:18]
	v_add_f64 v[23:24], v[19:20], v[13:14]
	v_add_f64 v[15:16], v[15:16], -v[21:22]
	v_add_f64 v[17:18], v[23:24], -v[19:20]
	v_add_f64 v[11:12], v[11:12], v[15:16]
	v_add_f64 v[13:14], v[13:14], -v[17:18]
	v_add_f64 v[11:12], v[11:12], v[13:14]
	v_add_f64 v[13:14], v[23:24], v[11:12]
	v_add_f64 v[15:16], v[13:14], -v[23:24]
	v_mul_f64 v[17:18], v[4:5], v[13:14]
	v_add_f64 v[11:12], v[11:12], -v[15:16]
	v_fma_f64 v[13:14], v[4:5], v[13:14], -v[17:18]
	v_cmp_class_f64_e64 vcc_lo, v[17:18], 0x204
	v_fma_f64 v[11:12], v[4:5], v[11:12], v[13:14]
	v_add_f64 v[13:14], v[17:18], v[11:12]
	v_cndmask_b32_e32 v16, v14, v18, vcc_lo
	v_cndmask_b32_e32 v15, v13, v17, vcc_lo
	v_add_f64 v[13:14], v[13:14], -v[17:18]
	v_mul_f64 v[19:20], v[15:16], s[50:51]
	v_cmp_nlt_f64_e64 s0, 0x40900000, v[15:16]
	v_cmp_neq_f64_e64 vcc_lo, 0x7ff00000, |v[15:16]|
	v_cmp_ngt_f64_e64 s1, 0xc090cc00, v[15:16]
	v_add_f64 v[11:12], v[11:12], -v[13:14]
	v_trunc_f64_e32 v[13:14], v[4:5]
	v_rndne_f64_e32 v[19:20], v[19:20]
	v_cndmask_b32_e32 v12, 0, v12, vcc_lo
	v_cndmask_b32_e32 v11, 0, v11, vcc_lo
	s_and_b32 vcc_lo, s1, s0
	v_fma_f64 v[21:22], v[19:20], s[52:53], v[15:16]
	v_cvt_i32_f64_e32 v25, v[19:20]
	v_fma_f64 v[21:22], v[19:20], s[54:55], v[21:22]
	v_fma_f64 v[23:24], v[21:22], s[58:59], s[56:57]
	;; [unrolled: 1-line block ×10, first 2 shown]
	v_fma_f64 v[23:24], v[21:22], v[23:24], 1.0
	v_fma_f64 v[19:20], v[21:22], v[23:24], 1.0
	v_ldexp_f64 v[17:18], v[19:20], v25
	v_mul_f64 v[19:20], v[4:5], 0.5
	v_cndmask_b32_e64 v18, 0x7ff00000, v18, s0
	v_trunc_f64_e32 v[15:16], v[19:20]
	v_cndmask_b32_e32 v17, 0, v17, vcc_lo
	v_cmp_eq_f64_e32 vcc_lo, v[13:14], v[4:5]
	v_cndmask_b32_e64 v18, 0, v18, s1
	v_fma_f64 v[11:12], v[17:18], v[11:12], v[17:18]
	v_cmp_class_f64_e64 s1, v[17:18], 0x204
	v_cmp_neq_f64_e64 s0, v[15:16], v[19:20]
	v_cndmask_b32_e64 v15, 0x7ff00000, 0, s3
	v_cmp_neq_f64_e64 s3, |v[9:10]|, 1.0
	v_cndmask_b32_e64 v12, v12, v18, s1
	v_cndmask_b32_e64 v11, v11, v17, s1
	v_cmp_gt_f64_e64 s1, 0, v[4:5]
	v_cndmask_b32_e32 v14, 0, v11, vcc_lo
	s_and_b32 s0, vcc_lo, s0
	v_cndmask_b32_e64 v13, 0x3ff00000, v10, s0
	v_cndmask_b32_e64 v15, 0x3ff00000, v15, s3
	v_bfi_b32 v12, 0x7fffffff, v12, v13
	v_cndmask_b32_e32 v13, 0x7ff80000, v12, vcc_lo
	v_cmp_gt_f64_e32 vcc_lo, 0, v[9:10]
	s_xor_b32 s1, s1, s2
	v_cndmask_b32_e32 v11, v11, v14, vcc_lo
	v_cndmask_b32_e32 v12, v12, v13, vcc_lo
	v_cmp_class_f64_e64 vcc_lo, v[4:5], 0x204
	v_cndmask_b32_e64 v13, 0x7ff00000, 0, s1
	v_cndmask_b32_e64 v14, 0, v10, s0
	s_or_b32 s0, s2, s15
	v_bfi_b32 v13, 0x7fffffff, v13, v14
	v_cndmask_b32_e32 v12, v12, v15, vcc_lo
	v_cndmask_b32_e64 v12, v12, v13, s0
	s_or_b32 s0, s0, vcc_lo
	v_cmp_o_f64_e32 vcc_lo, v[9:10], v[4:5]
	v_cndmask_b32_e64 v11, v11, 0, s0
	v_add_co_u32 v0, s0, v0, s16
	v_add_co_ci_u32_e64 v1, null, s17, v1, s0
	v_cndmask_b32_e32 v4, 0, v11, vcc_lo
	v_cndmask_b32_e32 v5, 0x7ff80000, v12, vcc_lo
	v_sub_co_u32 v7, vcc_lo, v7, s16
	v_subrev_co_ci_u32_e64 v8, null, s17, v8, vcc_lo
	v_cmp_le_i64_e32 vcc_lo, s[8:9], v[0:1]
	global_store_dwordx2 v[2:3], v[4:5], off
	v_add_co_u32 v2, s0, v2, s22
	v_add_co_ci_u32_e64 v3, null, s23, v3, s0
	s_or_b32 s33, vcc_lo, s33
	s_andn2_b32 exec_lo, exec_lo, s33
	s_cbranch_execz .LBB33_7
.LBB33_3:                               ; =>This Inner Loop Header: Depth=1
	s_mov_b32 s0, exec_lo
                                        ; implicit-def: $vgpr4_vgpr5
	v_cmpx_le_i64_e64 s[20:21], v[0:1]
	s_xor_b32 s0, exec_lo, s0
	s_cbranch_execz .LBB33_5
; %bb.4:                                ;   in Loop: Header=BB33_3 Depth=1
	v_cvt_f64_i32_e32 v[4:5], v8
	v_cvt_f64_u32_e32 v[9:10], v7
	v_ldexp_f64 v[4:5], v[4:5], 32
	v_add_f64 v[4:5], v[4:5], v[9:10]
	v_fma_f64 v[4:5], -s[18:19], v[4:5], s[12:13]
.LBB33_5:                               ;   in Loop: Header=BB33_3 Depth=1
	s_andn2_saveexec_b32 s0, s0
	s_cbranch_execz .LBB33_2
; %bb.6:                                ;   in Loop: Header=BB33_3 Depth=1
	v_cvt_f64_u32_e32 v[4:5], v1
	v_cvt_f64_u32_e32 v[9:10], v0
	v_ldexp_f64 v[4:5], v[4:5], 32
	v_add_f64 v[4:5], v[4:5], v[9:10]
	v_fma_f64 v[4:5], s[18:19], v[4:5], s[10:11]
	s_branch .LBB33_2
.LBB33_7:
	s_endpgm
	.section	.rodata,"a",@progbits
	.p2align	6, 0x0
	.amdhsa_kernel _ZN12_GLOBAL__N_141elementwise_kernel_with_index_grid_strideIlZZZN2at6native17logspace_cuda_outERKN3c106ScalarES6_ldRNS1_6TensorEENKUlvE0_clEvENKUlvE_clEvEUllE_EEvT_T0_PN15function_traitsISD_E11result_typeE
		.amdhsa_group_segment_fixed_size 0
		.amdhsa_private_segment_fixed_size 0
		.amdhsa_kernarg_size 320
		.amdhsa_user_sgpr_count 6
		.amdhsa_user_sgpr_private_segment_buffer 1
		.amdhsa_user_sgpr_dispatch_ptr 0
		.amdhsa_user_sgpr_queue_ptr 0
		.amdhsa_user_sgpr_kernarg_segment_ptr 1
		.amdhsa_user_sgpr_dispatch_id 0
		.amdhsa_user_sgpr_flat_scratch_init 0
		.amdhsa_user_sgpr_private_segment_size 0
		.amdhsa_wavefront_size32 1
		.amdhsa_uses_dynamic_stack 0
		.amdhsa_system_sgpr_private_segment_wavefront_offset 0
		.amdhsa_system_sgpr_workgroup_id_x 1
		.amdhsa_system_sgpr_workgroup_id_y 0
		.amdhsa_system_sgpr_workgroup_id_z 0
		.amdhsa_system_sgpr_workgroup_info 0
		.amdhsa_system_vgpr_workitem_id 0
		.amdhsa_next_free_vgpr 31
		.amdhsa_next_free_sgpr 77
		.amdhsa_reserve_vcc 1
		.amdhsa_reserve_flat_scratch 0
		.amdhsa_float_round_mode_32 0
		.amdhsa_float_round_mode_16_64 0
		.amdhsa_float_denorm_mode_32 3
		.amdhsa_float_denorm_mode_16_64 3
		.amdhsa_dx10_clamp 1
		.amdhsa_ieee_mode 1
		.amdhsa_fp16_overflow 0
		.amdhsa_workgroup_processor_mode 1
		.amdhsa_memory_ordered 1
		.amdhsa_forward_progress 1
		.amdhsa_shared_vgpr_count 0
		.amdhsa_exception_fp_ieee_invalid_op 0
		.amdhsa_exception_fp_denorm_src 0
		.amdhsa_exception_fp_ieee_div_zero 0
		.amdhsa_exception_fp_ieee_overflow 0
		.amdhsa_exception_fp_ieee_underflow 0
		.amdhsa_exception_fp_ieee_inexact 0
		.amdhsa_exception_int_div_zero 0
	.end_amdhsa_kernel
	.section	.text._ZN12_GLOBAL__N_141elementwise_kernel_with_index_grid_strideIlZZZN2at6native17logspace_cuda_outERKN3c106ScalarES6_ldRNS1_6TensorEENKUlvE0_clEvENKUlvE_clEvEUllE_EEvT_T0_PN15function_traitsISD_E11result_typeE,"axG",@progbits,_ZN12_GLOBAL__N_141elementwise_kernel_with_index_grid_strideIlZZZN2at6native17logspace_cuda_outERKN3c106ScalarES6_ldRNS1_6TensorEENKUlvE0_clEvENKUlvE_clEvEUllE_EEvT_T0_PN15function_traitsISD_E11result_typeE,comdat
.Lfunc_end33:
	.size	_ZN12_GLOBAL__N_141elementwise_kernel_with_index_grid_strideIlZZZN2at6native17logspace_cuda_outERKN3c106ScalarES6_ldRNS1_6TensorEENKUlvE0_clEvENKUlvE_clEvEUllE_EEvT_T0_PN15function_traitsISD_E11result_typeE, .Lfunc_end33-_ZN12_GLOBAL__N_141elementwise_kernel_with_index_grid_strideIlZZZN2at6native17logspace_cuda_outERKN3c106ScalarES6_ldRNS1_6TensorEENKUlvE0_clEvENKUlvE_clEvEUllE_EEvT_T0_PN15function_traitsISD_E11result_typeE
                                        ; -- End function
	.set _ZN12_GLOBAL__N_141elementwise_kernel_with_index_grid_strideIlZZZN2at6native17logspace_cuda_outERKN3c106ScalarES6_ldRNS1_6TensorEENKUlvE0_clEvENKUlvE_clEvEUllE_EEvT_T0_PN15function_traitsISD_E11result_typeE.num_vgpr, 31
	.set _ZN12_GLOBAL__N_141elementwise_kernel_with_index_grid_strideIlZZZN2at6native17logspace_cuda_outERKN3c106ScalarES6_ldRNS1_6TensorEENKUlvE0_clEvENKUlvE_clEvEUllE_EEvT_T0_PN15function_traitsISD_E11result_typeE.num_agpr, 0
	.set _ZN12_GLOBAL__N_141elementwise_kernel_with_index_grid_strideIlZZZN2at6native17logspace_cuda_outERKN3c106ScalarES6_ldRNS1_6TensorEENKUlvE0_clEvENKUlvE_clEvEUllE_EEvT_T0_PN15function_traitsISD_E11result_typeE.numbered_sgpr, 77
	.set _ZN12_GLOBAL__N_141elementwise_kernel_with_index_grid_strideIlZZZN2at6native17logspace_cuda_outERKN3c106ScalarES6_ldRNS1_6TensorEENKUlvE0_clEvENKUlvE_clEvEUllE_EEvT_T0_PN15function_traitsISD_E11result_typeE.num_named_barrier, 0
	.set _ZN12_GLOBAL__N_141elementwise_kernel_with_index_grid_strideIlZZZN2at6native17logspace_cuda_outERKN3c106ScalarES6_ldRNS1_6TensorEENKUlvE0_clEvENKUlvE_clEvEUllE_EEvT_T0_PN15function_traitsISD_E11result_typeE.private_seg_size, 0
	.set _ZN12_GLOBAL__N_141elementwise_kernel_with_index_grid_strideIlZZZN2at6native17logspace_cuda_outERKN3c106ScalarES6_ldRNS1_6TensorEENKUlvE0_clEvENKUlvE_clEvEUllE_EEvT_T0_PN15function_traitsISD_E11result_typeE.uses_vcc, 1
	.set _ZN12_GLOBAL__N_141elementwise_kernel_with_index_grid_strideIlZZZN2at6native17logspace_cuda_outERKN3c106ScalarES6_ldRNS1_6TensorEENKUlvE0_clEvENKUlvE_clEvEUllE_EEvT_T0_PN15function_traitsISD_E11result_typeE.uses_flat_scratch, 0
	.set _ZN12_GLOBAL__N_141elementwise_kernel_with_index_grid_strideIlZZZN2at6native17logspace_cuda_outERKN3c106ScalarES6_ldRNS1_6TensorEENKUlvE0_clEvENKUlvE_clEvEUllE_EEvT_T0_PN15function_traitsISD_E11result_typeE.has_dyn_sized_stack, 0
	.set _ZN12_GLOBAL__N_141elementwise_kernel_with_index_grid_strideIlZZZN2at6native17logspace_cuda_outERKN3c106ScalarES6_ldRNS1_6TensorEENKUlvE0_clEvENKUlvE_clEvEUllE_EEvT_T0_PN15function_traitsISD_E11result_typeE.has_recursion, 0
	.set _ZN12_GLOBAL__N_141elementwise_kernel_with_index_grid_strideIlZZZN2at6native17logspace_cuda_outERKN3c106ScalarES6_ldRNS1_6TensorEENKUlvE0_clEvENKUlvE_clEvEUllE_EEvT_T0_PN15function_traitsISD_E11result_typeE.has_indirect_call, 0
	.section	.AMDGPU.csdata,"",@progbits
; Kernel info:
; codeLenInByte = 2224
; TotalNumSgprs: 79
; NumVgprs: 31
; ScratchSize: 0
; MemoryBound: 0
; FloatMode: 240
; IeeeMode: 1
; LDSByteSize: 0 bytes/workgroup (compile time only)
; SGPRBlocks: 0
; VGPRBlocks: 3
; NumSGPRsForWavesPerEU: 79
; NumVGPRsForWavesPerEU: 31
; Occupancy: 16
; WaveLimiterHint : 0
; COMPUTE_PGM_RSRC2:SCRATCH_EN: 0
; COMPUTE_PGM_RSRC2:USER_SGPR: 6
; COMPUTE_PGM_RSRC2:TRAP_HANDLER: 0
; COMPUTE_PGM_RSRC2:TGID_X_EN: 1
; COMPUTE_PGM_RSRC2:TGID_Y_EN: 0
; COMPUTE_PGM_RSRC2:TGID_Z_EN: 0
; COMPUTE_PGM_RSRC2:TIDIG_COMP_CNT: 0
	.section	.text._ZN12_GLOBAL__N_141elementwise_kernel_with_index_grid_strideIiZZZN2at6native17logspace_cuda_outERKN3c106ScalarES6_ldRNS1_6TensorEENKUlvE0_clEvENKUlvE0_clEvEUllE_EEvT_T0_PN15function_traitsISD_E11result_typeE,"axG",@progbits,_ZN12_GLOBAL__N_141elementwise_kernel_with_index_grid_strideIiZZZN2at6native17logspace_cuda_outERKN3c106ScalarES6_ldRNS1_6TensorEENKUlvE0_clEvENKUlvE0_clEvEUllE_EEvT_T0_PN15function_traitsISD_E11result_typeE,comdat
	.globl	_ZN12_GLOBAL__N_141elementwise_kernel_with_index_grid_strideIiZZZN2at6native17logspace_cuda_outERKN3c106ScalarES6_ldRNS1_6TensorEENKUlvE0_clEvENKUlvE0_clEvEUllE_EEvT_T0_PN15function_traitsISD_E11result_typeE ; -- Begin function _ZN12_GLOBAL__N_141elementwise_kernel_with_index_grid_strideIiZZZN2at6native17logspace_cuda_outERKN3c106ScalarES6_ldRNS1_6TensorEENKUlvE0_clEvENKUlvE0_clEvEUllE_EEvT_T0_PN15function_traitsISD_E11result_typeE
	.p2align	8
	.type	_ZN12_GLOBAL__N_141elementwise_kernel_with_index_grid_strideIiZZZN2at6native17logspace_cuda_outERKN3c106ScalarES6_ldRNS1_6TensorEENKUlvE0_clEvENKUlvE0_clEvEUllE_EEvT_T0_PN15function_traitsISD_E11result_typeE,@function
_ZN12_GLOBAL__N_141elementwise_kernel_with_index_grid_strideIiZZZN2at6native17logspace_cuda_outERKN3c106ScalarES6_ldRNS1_6TensorEENKUlvE0_clEvENKUlvE0_clEvEUllE_EEvT_T0_PN15function_traitsISD_E11result_typeE: ; @_ZN12_GLOBAL__N_141elementwise_kernel_with_index_grid_strideIiZZZN2at6native17logspace_cuda_outERKN3c106ScalarES6_ldRNS1_6TensorEENKUlvE0_clEvENKUlvE0_clEvEUllE_EEvT_T0_PN15function_traitsISD_E11result_typeE
; %bb.0:
	s_clause 0x1
	s_load_dword s2, s[4:5], 0x44
	s_load_dword s3, s[4:5], 0x0
	s_add_u32 s0, s4, 56
	s_addc_u32 s1, s5, 0
	s_waitcnt lgkmcnt(0)
	s_and_b32 s2, s2, 0xffff
	v_mad_u64_u32 v[0:1], null, s6, s2, v[0:1]
	s_mov_b32 s6, exec_lo
	v_cmpx_gt_i32_e64 s3, v0
	s_cbranch_execz .LBB34_7
; %bb.1:
	s_load_dword s6, s[0:1], 0x0
	s_clause 0x2
	s_load_dwordx4 s[8:11], s[4:5], 0x8
	s_load_dwordx2 s[0:1], s[4:5], 0x18
	s_load_dwordx4 s[12:15], s[4:5], 0x28
	s_waitcnt lgkmcnt(0)
	s_load_dword s11, s[4:5], 0x20
	v_ashrrev_i32_e32 v1, 31, v0
	v_not_b32_e32 v2, v0
	v_lshlrev_b64 v[4:5], 2, v[0:1]
	v_not_b32_e32 v3, v1
	s_mul_i32 s4, s6, s2
	v_cmp_eq_f32_e64 s16, s10, 1.0
	v_add_co_u32 v2, vcc_lo, v2, s0
	v_add_co_ci_u32_e64 v3, null, s1, v3, vcc_lo
	v_add_co_u32 v4, vcc_lo, s14, v4
	v_add_co_ci_u32_e64 v5, null, s15, v5, vcc_lo
	s_ashr_i32 s5, s4, 31
	s_mov_b32 s14, 0
	s_lshl_b64 s[6:7], s[4:5], 2
	s_mov_b32 s15, 0x3e76c4e1
	s_branch .LBB34_3
.LBB34_2:                               ;   in Loop: Header=BB34_3 Depth=1
	s_or_b32 exec_lo, exec_lo, s0
	v_cndmask_b32_e64 v8, v6, 1.0, s16
	v_cmp_neq_f32_e32 vcc_lo, 0, v8
	v_cmp_neq_f32_e64 s17, v8, |v8|
	v_cndmask_b32_e64 v9, 1.0, s10, vcc_lo
	v_frexp_mant_f32_e64 v6, |v9|
	v_cmp_lt_f32_e64 s18, |v9|, 1.0
	v_cmp_eq_f32_e64 s2, 0, v9
	v_cmp_gt_f32_e32 vcc_lo, 0x3f2aaaab, v6
	s_xor_b32 s17, s17, s18
	v_cndmask_b32_e64 v7, 1.0, 2.0, vcc_lo
	v_mul_f32_e32 v6, v6, v7
	v_add_f32_e32 v7, 1.0, v6
	v_add_f32_e32 v11, -1.0, v6
	v_rcp_f32_e32 v10, v7
	v_add_f32_e32 v13, -1.0, v7
	v_sub_f32_e32 v6, v6, v13
	v_mul_f32_e32 v12, v11, v10
	v_mul_f32_e32 v14, v7, v12
	v_fma_f32 v7, v12, v7, -v14
	v_fmac_f32_e32 v7, v12, v6
	v_add_f32_e32 v6, v14, v7
	v_sub_f32_e32 v13, v11, v6
	v_sub_f32_e32 v14, v6, v14
	v_sub_f32_e32 v11, v11, v13
	v_sub_f32_e32 v7, v14, v7
	v_sub_f32_e32 v6, v11, v6
	v_add_f32_e32 v6, v7, v6
	v_add_f32_e32 v6, v13, v6
	v_mul_f32_e32 v6, v10, v6
	v_add_f32_e32 v10, v12, v6
	v_sub_f32_e32 v7, v10, v12
	v_mul_f32_e32 v11, v10, v10
	v_sub_f32_e32 v12, v6, v7
	v_fma_f32 v6, v10, v10, -v11
	v_add_f32_e32 v7, v12, v12
	v_fmac_f32_e32 v6, v10, v7
	v_add_f32_e32 v13, v11, v6
	v_fmaak_f32 v7, s15, v13, 0x3e91f4c4
	v_sub_f32_e32 v11, v13, v11
	v_mul_f32_e32 v18, v10, v13
	v_fmaak_f32 v7, v13, v7, 0x3ecccdef
	v_sub_f32_e32 v11, v6, v11
	v_fma_f32 v19, v13, v10, -v18
	v_mul_f32_e32 v14, v13, v7
	v_fmac_f32_e32 v19, v13, v12
	v_ldexp_f32 v12, v12, 1
	v_fma_f32 v15, v13, v7, -v14
	v_fmac_f32_e32 v19, v11, v10
	v_fmac_f32_e32 v15, v11, v7
	v_cvt_f64_f32_e64 v[6:7], |v9|
	v_add_f32_e32 v16, v14, v15
	v_sub_f32_e32 v14, v16, v14
	v_add_f32_e32 v17, 0x3f2aaaaa, v16
	v_sub_f32_e32 v14, v15, v14
	v_add_f32_e32 v15, 0xbf2aaaaa, v17
	v_add_f32_e32 v14, 0x31739010, v14
	v_sub_f32_e32 v15, v16, v15
	v_frexp_exp_i32_f64_e32 v6, v[6:7]
	v_add_f32_e32 v13, v14, v15
	v_add_f32_e32 v14, v18, v19
	;; [unrolled: 1-line block ×3, first 2 shown]
	v_sub_f32_e32 v16, v14, v18
	v_sub_f32_e32 v7, v17, v11
	v_mul_f32_e32 v15, v14, v11
	v_sub_f32_e32 v16, v19, v16
	v_add_f32_e32 v7, v13, v7
	v_fma_f32 v13, v14, v11, -v15
	v_subrev_co_ci_u32_e64 v6, null, 0, v6, vcc_lo
	v_fmac_f32_e32 v13, v14, v7
	v_ldexp_f32 v7, v10, 1
	v_cvt_f32_i32_e32 v6, v6
	v_fmac_f32_e32 v13, v16, v11
	v_add_f32_e32 v10, v15, v13
	v_add_f32_e32 v11, v7, v10
	v_sub_f32_e32 v14, v10, v15
	v_mul_f32_e32 v15, 0x3f317218, v6
	v_sub_f32_e32 v7, v11, v7
	v_sub_f32_e32 v13, v13, v14
	v_fma_f32 v14, 0x3f317218, v6, -v15
	v_sub_f32_e32 v7, v10, v7
	v_add_f32_e32 v10, v12, v13
	v_fmac_f32_e32 v14, 0xb102e308, v6
	v_add_f32_e32 v6, v10, v7
	v_add_f32_e32 v7, v15, v14
	;; [unrolled: 1-line block ×3, first 2 shown]
	v_sub_f32_e32 v15, v7, v15
	v_add_f32_e32 v12, v7, v10
	v_sub_f32_e32 v11, v10, v11
	v_sub_f32_e32 v14, v14, v15
	;; [unrolled: 1-line block ×6, first 2 shown]
	v_add_f32_e32 v11, v14, v6
	v_sub_f32_e32 v7, v7, v16
	v_add_f32_e32 v7, v10, v7
	v_sub_f32_e32 v10, v11, v14
	;; [unrolled: 2-line block ×3, first 2 shown]
	v_sub_f32_e32 v6, v6, v10
	v_add_f32_e32 v13, v12, v7
	v_sub_f32_e32 v10, v14, v11
	v_sub_f32_e32 v11, v13, v12
	v_add_f32_e32 v6, v6, v10
	v_sub_f32_e32 v7, v7, v11
	v_add_f32_e32 v6, v6, v7
	v_add_f32_e32 v7, v13, v6
	v_sub_f32_e32 v10, v7, v13
	v_mul_f32_e32 v11, v8, v7
	v_sub_f32_e32 v6, v6, v10
	v_fma_f32 v7, v8, v7, -v11
	v_cmp_class_f32_e64 vcc_lo, v11, 0x204
	v_fmac_f32_e32 v7, v8, v6
	v_add_f32_e32 v6, v11, v7
	v_cndmask_b32_e32 v10, v6, v11, vcc_lo
	v_sub_f32_e32 v6, v6, v11
	v_cmp_eq_f32_e32 vcc_lo, 0x42b17218, v10
	v_sub_f32_e32 v6, v7, v6
	v_cndmask_b32_e64 v12, 0, 0x37000000, vcc_lo
	v_cmp_neq_f32_e64 vcc_lo, 0x7f800000, |v10|
	v_sub_f32_e32 v13, v10, v12
	v_cndmask_b32_e32 v6, 0, v6, vcc_lo
	v_trunc_f32_e32 v10, v8
	v_mul_f32_e32 v14, 0x3fb8aa3b, v13
	v_cmp_ngt_f32_e32 vcc_lo, 0xc2ce8ed0, v13
	v_add_f32_e32 v6, v12, v6
	v_fma_f32 v15, 0x3fb8aa3b, v13, -v14
	v_rndne_f32_e32 v16, v14
	v_fmac_f32_e32 v15, 0x32a5705f, v13
	v_sub_f32_e32 v14, v14, v16
	v_cvt_i32_f32_e32 v11, v16
	v_add_f32_e32 v14, v14, v15
	v_exp_f32_e32 v14, v14
	v_ldexp_f32 v7, v14, v11
	v_mul_f32_e32 v11, 0.5, v8
	v_cndmask_b32_e32 v7, 0, v7, vcc_lo
	v_cmp_nlt_f32_e32 vcc_lo, 0x42b17218, v13
	v_trunc_f32_e32 v14, v11
	v_cndmask_b32_e32 v7, 0x7f800000, v7, vcc_lo
	v_cmp_eq_f32_e32 vcc_lo, v10, v8
	v_cmp_neq_f32_e64 s0, v14, v11
	v_fma_f32 v6, v7, v6, v7
	v_cmp_class_f32_e64 s1, v7, 0x204
	s_and_b32 s0, vcc_lo, s0
	v_cndmask_b32_e64 v10, 1.0, v9, s0
	v_cndmask_b32_e64 v12, 0, v9, s0
	v_cndmask_b32_e64 v6, v6, v7, s1
	;; [unrolled: 1-line block ×3, first 2 shown]
	v_cmp_gt_f32_e64 s1, 0, v8
	v_cmp_class_f32_e64 s0, v9, 0x204
	v_bfi_b32 v6, 0x7fffffff, v6, v10
	s_xor_b32 s1, s1, s2
	v_cndmask_b32_e64 v10, 0x7f800000, 0, s1
	v_cndmask_b32_e32 v11, 0x7fc00000, v6, vcc_lo
	v_cmp_neq_f32_e64 vcc_lo, |v9|, 1.0
	v_bfi_b32 v10, 0x7fffffff, v10, v12
	v_cndmask_b32_e32 v7, 1.0, v7, vcc_lo
	v_cmp_gt_f32_e32 vcc_lo, 0, v9
	v_cndmask_b32_e32 v6, v6, v11, vcc_lo
	v_cmp_class_f32_e64 vcc_lo, v8, 0x204
	v_cndmask_b32_e32 v6, v6, v7, vcc_lo
	s_or_b32 vcc_lo, s2, s0
	v_cndmask_b32_e32 v6, v6, v10, vcc_lo
	v_add_co_u32 v0, vcc_lo, v0, s4
	v_add_co_ci_u32_e64 v1, null, s5, v1, vcc_lo
	v_cmp_o_f32_e32 vcc_lo, v9, v8
	v_cndmask_b32_e32 v6, 0x7fc00000, v6, vcc_lo
	v_sub_co_u32 v2, vcc_lo, v2, s4
	v_subrev_co_ci_u32_e64 v3, null, s5, v3, vcc_lo
	v_cmp_le_i32_e32 vcc_lo, s3, v0
	global_store_dword v[4:5], v6, off
	v_add_co_u32 v4, s0, v4, s6
	v_add_co_ci_u32_e64 v5, null, s7, v5, s0
	s_or_b32 s14, vcc_lo, s14
	s_andn2_b32 exec_lo, exec_lo, s14
	s_cbranch_execz .LBB34_7
.LBB34_3:                               ; =>This Inner Loop Header: Depth=1
	s_mov_b32 s0, exec_lo
                                        ; implicit-def: $vgpr6
	v_cmpx_le_i64_e64 s[12:13], v[0:1]
	s_xor_b32 s0, exec_lo, s0
	s_cbranch_execz .LBB34_5
; %bb.4:                                ;   in Loop: Header=BB34_3 Depth=1
	v_xor_b32_e32 v6, v2, v3
	v_ffbh_i32_e32 v7, v3
	v_ashrrev_i32_e32 v6, 31, v6
	v_add_nc_u32_e32 v7, -1, v7
	v_add_nc_u32_e32 v6, 32, v6
	v_min_u32_e32 v8, v7, v6
	v_lshlrev_b64 v[6:7], v8, v[2:3]
	v_min_u32_e32 v6, 1, v6
	v_or_b32_e32 v6, v7, v6
	v_sub_nc_u32_e32 v7, 32, v8
	v_cvt_f32_i32_e32 v6, v6
	v_ldexp_f32 v6, v6, v7
	s_waitcnt lgkmcnt(0)
	v_fma_f32 v6, -s11, v6, s9
.LBB34_5:                               ;   in Loop: Header=BB34_3 Depth=1
	s_andn2_saveexec_b32 s0, s0
	s_cbranch_execz .LBB34_2
; %bb.6:                                ;   in Loop: Header=BB34_3 Depth=1
	v_cvt_f32_i32_e32 v6, v0
	s_waitcnt lgkmcnt(0)
	v_fma_f32 v6, s11, v6, s8
	s_branch .LBB34_2
.LBB34_7:
	s_endpgm
	.section	.rodata,"a",@progbits
	.p2align	6, 0x0
	.amdhsa_kernel _ZN12_GLOBAL__N_141elementwise_kernel_with_index_grid_strideIiZZZN2at6native17logspace_cuda_outERKN3c106ScalarES6_ldRNS1_6TensorEENKUlvE0_clEvENKUlvE0_clEvEUllE_EEvT_T0_PN15function_traitsISD_E11result_typeE
		.amdhsa_group_segment_fixed_size 0
		.amdhsa_private_segment_fixed_size 0
		.amdhsa_kernarg_size 312
		.amdhsa_user_sgpr_count 6
		.amdhsa_user_sgpr_private_segment_buffer 1
		.amdhsa_user_sgpr_dispatch_ptr 0
		.amdhsa_user_sgpr_queue_ptr 0
		.amdhsa_user_sgpr_kernarg_segment_ptr 1
		.amdhsa_user_sgpr_dispatch_id 0
		.amdhsa_user_sgpr_flat_scratch_init 0
		.amdhsa_user_sgpr_private_segment_size 0
		.amdhsa_wavefront_size32 1
		.amdhsa_uses_dynamic_stack 0
		.amdhsa_system_sgpr_private_segment_wavefront_offset 0
		.amdhsa_system_sgpr_workgroup_id_x 1
		.amdhsa_system_sgpr_workgroup_id_y 0
		.amdhsa_system_sgpr_workgroup_id_z 0
		.amdhsa_system_sgpr_workgroup_info 0
		.amdhsa_system_vgpr_workitem_id 0
		.amdhsa_next_free_vgpr 20
		.amdhsa_next_free_sgpr 19
		.amdhsa_reserve_vcc 1
		.amdhsa_reserve_flat_scratch 0
		.amdhsa_float_round_mode_32 0
		.amdhsa_float_round_mode_16_64 0
		.amdhsa_float_denorm_mode_32 3
		.amdhsa_float_denorm_mode_16_64 3
		.amdhsa_dx10_clamp 1
		.amdhsa_ieee_mode 1
		.amdhsa_fp16_overflow 0
		.amdhsa_workgroup_processor_mode 1
		.amdhsa_memory_ordered 1
		.amdhsa_forward_progress 1
		.amdhsa_shared_vgpr_count 0
		.amdhsa_exception_fp_ieee_invalid_op 0
		.amdhsa_exception_fp_denorm_src 0
		.amdhsa_exception_fp_ieee_div_zero 0
		.amdhsa_exception_fp_ieee_overflow 0
		.amdhsa_exception_fp_ieee_underflow 0
		.amdhsa_exception_fp_ieee_inexact 0
		.amdhsa_exception_int_div_zero 0
	.end_amdhsa_kernel
	.section	.text._ZN12_GLOBAL__N_141elementwise_kernel_with_index_grid_strideIiZZZN2at6native17logspace_cuda_outERKN3c106ScalarES6_ldRNS1_6TensorEENKUlvE0_clEvENKUlvE0_clEvEUllE_EEvT_T0_PN15function_traitsISD_E11result_typeE,"axG",@progbits,_ZN12_GLOBAL__N_141elementwise_kernel_with_index_grid_strideIiZZZN2at6native17logspace_cuda_outERKN3c106ScalarES6_ldRNS1_6TensorEENKUlvE0_clEvENKUlvE0_clEvEUllE_EEvT_T0_PN15function_traitsISD_E11result_typeE,comdat
.Lfunc_end34:
	.size	_ZN12_GLOBAL__N_141elementwise_kernel_with_index_grid_strideIiZZZN2at6native17logspace_cuda_outERKN3c106ScalarES6_ldRNS1_6TensorEENKUlvE0_clEvENKUlvE0_clEvEUllE_EEvT_T0_PN15function_traitsISD_E11result_typeE, .Lfunc_end34-_ZN12_GLOBAL__N_141elementwise_kernel_with_index_grid_strideIiZZZN2at6native17logspace_cuda_outERKN3c106ScalarES6_ldRNS1_6TensorEENKUlvE0_clEvENKUlvE0_clEvEUllE_EEvT_T0_PN15function_traitsISD_E11result_typeE
                                        ; -- End function
	.set _ZN12_GLOBAL__N_141elementwise_kernel_with_index_grid_strideIiZZZN2at6native17logspace_cuda_outERKN3c106ScalarES6_ldRNS1_6TensorEENKUlvE0_clEvENKUlvE0_clEvEUllE_EEvT_T0_PN15function_traitsISD_E11result_typeE.num_vgpr, 20
	.set _ZN12_GLOBAL__N_141elementwise_kernel_with_index_grid_strideIiZZZN2at6native17logspace_cuda_outERKN3c106ScalarES6_ldRNS1_6TensorEENKUlvE0_clEvENKUlvE0_clEvEUllE_EEvT_T0_PN15function_traitsISD_E11result_typeE.num_agpr, 0
	.set _ZN12_GLOBAL__N_141elementwise_kernel_with_index_grid_strideIiZZZN2at6native17logspace_cuda_outERKN3c106ScalarES6_ldRNS1_6TensorEENKUlvE0_clEvENKUlvE0_clEvEUllE_EEvT_T0_PN15function_traitsISD_E11result_typeE.numbered_sgpr, 19
	.set _ZN12_GLOBAL__N_141elementwise_kernel_with_index_grid_strideIiZZZN2at6native17logspace_cuda_outERKN3c106ScalarES6_ldRNS1_6TensorEENKUlvE0_clEvENKUlvE0_clEvEUllE_EEvT_T0_PN15function_traitsISD_E11result_typeE.num_named_barrier, 0
	.set _ZN12_GLOBAL__N_141elementwise_kernel_with_index_grid_strideIiZZZN2at6native17logspace_cuda_outERKN3c106ScalarES6_ldRNS1_6TensorEENKUlvE0_clEvENKUlvE0_clEvEUllE_EEvT_T0_PN15function_traitsISD_E11result_typeE.private_seg_size, 0
	.set _ZN12_GLOBAL__N_141elementwise_kernel_with_index_grid_strideIiZZZN2at6native17logspace_cuda_outERKN3c106ScalarES6_ldRNS1_6TensorEENKUlvE0_clEvENKUlvE0_clEvEUllE_EEvT_T0_PN15function_traitsISD_E11result_typeE.uses_vcc, 1
	.set _ZN12_GLOBAL__N_141elementwise_kernel_with_index_grid_strideIiZZZN2at6native17logspace_cuda_outERKN3c106ScalarES6_ldRNS1_6TensorEENKUlvE0_clEvENKUlvE0_clEvEUllE_EEvT_T0_PN15function_traitsISD_E11result_typeE.uses_flat_scratch, 0
	.set _ZN12_GLOBAL__N_141elementwise_kernel_with_index_grid_strideIiZZZN2at6native17logspace_cuda_outERKN3c106ScalarES6_ldRNS1_6TensorEENKUlvE0_clEvENKUlvE0_clEvEUllE_EEvT_T0_PN15function_traitsISD_E11result_typeE.has_dyn_sized_stack, 0
	.set _ZN12_GLOBAL__N_141elementwise_kernel_with_index_grid_strideIiZZZN2at6native17logspace_cuda_outERKN3c106ScalarES6_ldRNS1_6TensorEENKUlvE0_clEvENKUlvE0_clEvEUllE_EEvT_T0_PN15function_traitsISD_E11result_typeE.has_recursion, 0
	.set _ZN12_GLOBAL__N_141elementwise_kernel_with_index_grid_strideIiZZZN2at6native17logspace_cuda_outERKN3c106ScalarES6_ldRNS1_6TensorEENKUlvE0_clEvENKUlvE0_clEvEUllE_EEvT_T0_PN15function_traitsISD_E11result_typeE.has_indirect_call, 0
	.section	.AMDGPU.csdata,"",@progbits
; Kernel info:
; codeLenInByte = 1316
; TotalNumSgprs: 21
; NumVgprs: 20
; ScratchSize: 0
; MemoryBound: 0
; FloatMode: 240
; IeeeMode: 1
; LDSByteSize: 0 bytes/workgroup (compile time only)
; SGPRBlocks: 0
; VGPRBlocks: 2
; NumSGPRsForWavesPerEU: 21
; NumVGPRsForWavesPerEU: 20
; Occupancy: 16
; WaveLimiterHint : 0
; COMPUTE_PGM_RSRC2:SCRATCH_EN: 0
; COMPUTE_PGM_RSRC2:USER_SGPR: 6
; COMPUTE_PGM_RSRC2:TRAP_HANDLER: 0
; COMPUTE_PGM_RSRC2:TGID_X_EN: 1
; COMPUTE_PGM_RSRC2:TGID_Y_EN: 0
; COMPUTE_PGM_RSRC2:TGID_Z_EN: 0
; COMPUTE_PGM_RSRC2:TIDIG_COMP_CNT: 0
	.section	.text._ZN12_GLOBAL__N_141elementwise_kernel_with_index_grid_strideIlZZZN2at6native17logspace_cuda_outERKN3c106ScalarES6_ldRNS1_6TensorEENKUlvE0_clEvENKUlvE0_clEvEUllE_EEvT_T0_PN15function_traitsISD_E11result_typeE,"axG",@progbits,_ZN12_GLOBAL__N_141elementwise_kernel_with_index_grid_strideIlZZZN2at6native17logspace_cuda_outERKN3c106ScalarES6_ldRNS1_6TensorEENKUlvE0_clEvENKUlvE0_clEvEUllE_EEvT_T0_PN15function_traitsISD_E11result_typeE,comdat
	.globl	_ZN12_GLOBAL__N_141elementwise_kernel_with_index_grid_strideIlZZZN2at6native17logspace_cuda_outERKN3c106ScalarES6_ldRNS1_6TensorEENKUlvE0_clEvENKUlvE0_clEvEUllE_EEvT_T0_PN15function_traitsISD_E11result_typeE ; -- Begin function _ZN12_GLOBAL__N_141elementwise_kernel_with_index_grid_strideIlZZZN2at6native17logspace_cuda_outERKN3c106ScalarES6_ldRNS1_6TensorEENKUlvE0_clEvENKUlvE0_clEvEUllE_EEvT_T0_PN15function_traitsISD_E11result_typeE
	.p2align	8
	.type	_ZN12_GLOBAL__N_141elementwise_kernel_with_index_grid_strideIlZZZN2at6native17logspace_cuda_outERKN3c106ScalarES6_ldRNS1_6TensorEENKUlvE0_clEvENKUlvE0_clEvEUllE_EEvT_T0_PN15function_traitsISD_E11result_typeE,@function
_ZN12_GLOBAL__N_141elementwise_kernel_with_index_grid_strideIlZZZN2at6native17logspace_cuda_outERKN3c106ScalarES6_ldRNS1_6TensorEENKUlvE0_clEvENKUlvE0_clEvEUllE_EEvT_T0_PN15function_traitsISD_E11result_typeE: ; @_ZN12_GLOBAL__N_141elementwise_kernel_with_index_grid_strideIlZZZN2at6native17logspace_cuda_outERKN3c106ScalarES6_ldRNS1_6TensorEENKUlvE0_clEvENKUlvE0_clEvEUllE_EEvT_T0_PN15function_traitsISD_E11result_typeE
; %bb.0:
	s_clause 0x1
	s_load_dword s2, s[4:5], 0x44
	s_load_dwordx2 s[16:17], s[4:5], 0x0
	v_mov_b32_e32 v1, 0
	s_add_u32 s0, s4, 56
	s_addc_u32 s1, s5, 0
	s_mov_b32 s3, exec_lo
	s_waitcnt lgkmcnt(0)
	s_and_b32 s2, s2, 0xffff
	v_mad_u64_u32 v[0:1], null, s2, s6, v[0:1]
	v_cmpx_gt_i64_e64 s[16:17], v[0:1]
	s_cbranch_execz .LBB35_7
; %bb.1:
	s_load_dword s6, s[0:1], 0x0
	s_clause 0x3
	s_load_dwordx4 s[8:11], s[4:5], 0x8
	s_load_dwordx2 s[0:1], s[4:5], 0x18
	s_load_dwordx4 s[12:15], s[4:5], 0x28
	s_load_dword s3, s[4:5], 0x20
	v_not_b32_e32 v2, v0
	v_lshlrev_b64 v[4:5], 2, v[0:1]
	v_not_b32_e32 v3, v1
	s_waitcnt lgkmcnt(0)
	s_mul_hi_u32 s5, s2, s6
	v_cmp_eq_f32_e64 s11, s10, 1.0
	v_add_co_u32 v2, vcc_lo, v2, s0
	v_add_co_ci_u32_e64 v3, null, s1, v3, vcc_lo
	v_add_co_u32 v4, vcc_lo, s14, v4
	v_add_co_ci_u32_e64 v5, null, s15, v5, vcc_lo
	s_mul_i32 s4, s2, s6
	s_mov_b32 s14, 0
	s_lshl_b64 s[6:7], s[4:5], 2
	s_mov_b32 s15, 0x3e76c4e1
	s_branch .LBB35_3
.LBB35_2:                               ;   in Loop: Header=BB35_3 Depth=1
	s_or_b32 exec_lo, exec_lo, s0
	v_cndmask_b32_e64 v8, v6, 1.0, s11
	v_cmp_neq_f32_e32 vcc_lo, 0, v8
	v_cmp_neq_f32_e64 s18, v8, |v8|
	v_cndmask_b32_e64 v9, 1.0, s10, vcc_lo
	v_frexp_mant_f32_e64 v6, |v9|
	v_cmp_lt_f32_e64 s19, |v9|, 1.0
	v_cmp_eq_f32_e64 s2, 0, v9
	v_cmp_gt_f32_e32 vcc_lo, 0x3f2aaaab, v6
	s_xor_b32 s18, s18, s19
	v_cndmask_b32_e64 v7, 1.0, 2.0, vcc_lo
	v_mul_f32_e32 v6, v6, v7
	v_add_f32_e32 v7, 1.0, v6
	v_add_f32_e32 v11, -1.0, v6
	v_rcp_f32_e32 v10, v7
	v_add_f32_e32 v13, -1.0, v7
	v_sub_f32_e32 v6, v6, v13
	v_mul_f32_e32 v12, v11, v10
	v_mul_f32_e32 v14, v7, v12
	v_fma_f32 v7, v12, v7, -v14
	v_fmac_f32_e32 v7, v12, v6
	v_add_f32_e32 v6, v14, v7
	v_sub_f32_e32 v13, v11, v6
	v_sub_f32_e32 v14, v6, v14
	;; [unrolled: 1-line block ×5, first 2 shown]
	v_add_f32_e32 v6, v7, v6
	v_add_f32_e32 v6, v13, v6
	v_mul_f32_e32 v6, v10, v6
	v_add_f32_e32 v10, v12, v6
	v_sub_f32_e32 v7, v10, v12
	v_mul_f32_e32 v11, v10, v10
	v_sub_f32_e32 v12, v6, v7
	v_fma_f32 v6, v10, v10, -v11
	v_add_f32_e32 v7, v12, v12
	v_fmac_f32_e32 v6, v10, v7
	v_add_f32_e32 v13, v11, v6
	v_fmaak_f32 v7, s15, v13, 0x3e91f4c4
	v_sub_f32_e32 v11, v13, v11
	v_mul_f32_e32 v18, v10, v13
	v_fmaak_f32 v7, v13, v7, 0x3ecccdef
	v_sub_f32_e32 v11, v6, v11
	v_fma_f32 v19, v13, v10, -v18
	v_mul_f32_e32 v14, v13, v7
	v_fmac_f32_e32 v19, v13, v12
	v_ldexp_f32 v12, v12, 1
	v_fma_f32 v15, v13, v7, -v14
	v_fmac_f32_e32 v19, v11, v10
	v_fmac_f32_e32 v15, v11, v7
	v_cvt_f64_f32_e64 v[6:7], |v9|
	v_add_f32_e32 v16, v14, v15
	v_sub_f32_e32 v14, v16, v14
	v_add_f32_e32 v17, 0x3f2aaaaa, v16
	v_sub_f32_e32 v14, v15, v14
	v_add_f32_e32 v15, 0xbf2aaaaa, v17
	v_add_f32_e32 v14, 0x31739010, v14
	v_sub_f32_e32 v15, v16, v15
	v_frexp_exp_i32_f64_e32 v6, v[6:7]
	v_add_f32_e32 v13, v14, v15
	v_add_f32_e32 v14, v18, v19
	;; [unrolled: 1-line block ×3, first 2 shown]
	v_sub_f32_e32 v16, v14, v18
	v_sub_f32_e32 v7, v17, v11
	v_mul_f32_e32 v15, v14, v11
	v_sub_f32_e32 v16, v19, v16
	v_add_f32_e32 v7, v13, v7
	v_fma_f32 v13, v14, v11, -v15
	v_subrev_co_ci_u32_e64 v6, null, 0, v6, vcc_lo
	v_fmac_f32_e32 v13, v14, v7
	v_ldexp_f32 v7, v10, 1
	v_cvt_f32_i32_e32 v6, v6
	v_fmac_f32_e32 v13, v16, v11
	v_add_f32_e32 v10, v15, v13
	v_add_f32_e32 v11, v7, v10
	v_sub_f32_e32 v14, v10, v15
	v_mul_f32_e32 v15, 0x3f317218, v6
	v_sub_f32_e32 v7, v11, v7
	v_sub_f32_e32 v13, v13, v14
	v_fma_f32 v14, 0x3f317218, v6, -v15
	v_sub_f32_e32 v7, v10, v7
	v_add_f32_e32 v10, v12, v13
	v_fmac_f32_e32 v14, 0xb102e308, v6
	v_add_f32_e32 v6, v10, v7
	v_add_f32_e32 v7, v15, v14
	;; [unrolled: 1-line block ×3, first 2 shown]
	v_sub_f32_e32 v15, v7, v15
	v_add_f32_e32 v12, v7, v10
	v_sub_f32_e32 v11, v10, v11
	v_sub_f32_e32 v14, v14, v15
	;; [unrolled: 1-line block ×6, first 2 shown]
	v_add_f32_e32 v11, v14, v6
	v_sub_f32_e32 v7, v7, v16
	v_add_f32_e32 v7, v10, v7
	v_sub_f32_e32 v10, v11, v14
	;; [unrolled: 2-line block ×3, first 2 shown]
	v_sub_f32_e32 v6, v6, v10
	v_add_f32_e32 v13, v12, v7
	v_sub_f32_e32 v10, v14, v11
	v_sub_f32_e32 v11, v13, v12
	v_add_f32_e32 v6, v6, v10
	v_sub_f32_e32 v7, v7, v11
	v_add_f32_e32 v6, v6, v7
	v_add_f32_e32 v7, v13, v6
	v_sub_f32_e32 v10, v7, v13
	v_mul_f32_e32 v11, v8, v7
	v_sub_f32_e32 v6, v6, v10
	v_fma_f32 v7, v8, v7, -v11
	v_cmp_class_f32_e64 vcc_lo, v11, 0x204
	v_fmac_f32_e32 v7, v8, v6
	v_add_f32_e32 v6, v11, v7
	v_cndmask_b32_e32 v10, v6, v11, vcc_lo
	v_sub_f32_e32 v6, v6, v11
	v_cmp_eq_f32_e32 vcc_lo, 0x42b17218, v10
	v_sub_f32_e32 v6, v7, v6
	v_cndmask_b32_e64 v12, 0, 0x37000000, vcc_lo
	v_cmp_neq_f32_e64 vcc_lo, 0x7f800000, |v10|
	v_sub_f32_e32 v13, v10, v12
	v_cndmask_b32_e32 v6, 0, v6, vcc_lo
	v_trunc_f32_e32 v10, v8
	v_mul_f32_e32 v14, 0x3fb8aa3b, v13
	v_cmp_ngt_f32_e32 vcc_lo, 0xc2ce8ed0, v13
	v_add_f32_e32 v6, v12, v6
	v_fma_f32 v15, 0x3fb8aa3b, v13, -v14
	v_rndne_f32_e32 v16, v14
	v_fmac_f32_e32 v15, 0x32a5705f, v13
	v_sub_f32_e32 v14, v14, v16
	v_cvt_i32_f32_e32 v11, v16
	v_add_f32_e32 v14, v14, v15
	v_exp_f32_e32 v14, v14
	v_ldexp_f32 v7, v14, v11
	v_mul_f32_e32 v11, 0.5, v8
	v_cndmask_b32_e32 v7, 0, v7, vcc_lo
	v_cmp_nlt_f32_e32 vcc_lo, 0x42b17218, v13
	v_trunc_f32_e32 v14, v11
	v_cndmask_b32_e32 v7, 0x7f800000, v7, vcc_lo
	v_cmp_eq_f32_e32 vcc_lo, v10, v8
	v_cmp_neq_f32_e64 s0, v14, v11
	v_fma_f32 v6, v7, v6, v7
	v_cmp_class_f32_e64 s1, v7, 0x204
	s_and_b32 s0, vcc_lo, s0
	v_cndmask_b32_e64 v10, 1.0, v9, s0
	v_cndmask_b32_e64 v12, 0, v9, s0
	v_cndmask_b32_e64 v6, v6, v7, s1
	;; [unrolled: 1-line block ×3, first 2 shown]
	v_cmp_gt_f32_e64 s1, 0, v8
	v_cmp_class_f32_e64 s0, v9, 0x204
	v_bfi_b32 v6, 0x7fffffff, v6, v10
	s_xor_b32 s1, s1, s2
	v_cndmask_b32_e64 v10, 0x7f800000, 0, s1
	v_cndmask_b32_e32 v11, 0x7fc00000, v6, vcc_lo
	v_cmp_neq_f32_e64 vcc_lo, |v9|, 1.0
	v_bfi_b32 v10, 0x7fffffff, v10, v12
	v_cndmask_b32_e32 v7, 1.0, v7, vcc_lo
	v_cmp_gt_f32_e32 vcc_lo, 0, v9
	v_cndmask_b32_e32 v6, v6, v11, vcc_lo
	v_cmp_class_f32_e64 vcc_lo, v8, 0x204
	v_cndmask_b32_e32 v6, v6, v7, vcc_lo
	s_or_b32 vcc_lo, s2, s0
	v_cndmask_b32_e32 v6, v6, v10, vcc_lo
	v_add_co_u32 v0, vcc_lo, v0, s4
	v_add_co_ci_u32_e64 v1, null, s5, v1, vcc_lo
	v_cmp_o_f32_e32 vcc_lo, v9, v8
	v_cndmask_b32_e32 v6, 0x7fc00000, v6, vcc_lo
	v_sub_co_u32 v2, vcc_lo, v2, s4
	v_subrev_co_ci_u32_e64 v3, null, s5, v3, vcc_lo
	v_cmp_le_i64_e32 vcc_lo, s[16:17], v[0:1]
	global_store_dword v[4:5], v6, off
	v_add_co_u32 v4, s0, v4, s6
	v_add_co_ci_u32_e64 v5, null, s7, v5, s0
	s_or_b32 s14, vcc_lo, s14
	s_andn2_b32 exec_lo, exec_lo, s14
	s_cbranch_execz .LBB35_7
.LBB35_3:                               ; =>This Inner Loop Header: Depth=1
	s_mov_b32 s0, exec_lo
                                        ; implicit-def: $vgpr6
	v_cmpx_le_i64_e64 s[12:13], v[0:1]
	s_xor_b32 s0, exec_lo, s0
	s_cbranch_execz .LBB35_5
; %bb.4:                                ;   in Loop: Header=BB35_3 Depth=1
	v_xor_b32_e32 v6, v2, v3
	v_ffbh_i32_e32 v7, v3
	v_ashrrev_i32_e32 v6, 31, v6
	v_add_nc_u32_e32 v7, -1, v7
	v_add_nc_u32_e32 v6, 32, v6
	v_min_u32_e32 v8, v7, v6
	v_lshlrev_b64 v[6:7], v8, v[2:3]
	v_min_u32_e32 v6, 1, v6
	v_or_b32_e32 v6, v7, v6
	v_sub_nc_u32_e32 v7, 32, v8
	v_cvt_f32_i32_e32 v6, v6
	v_ldexp_f32 v6, v6, v7
	v_fma_f32 v6, -s3, v6, s9
.LBB35_5:                               ;   in Loop: Header=BB35_3 Depth=1
	s_andn2_saveexec_b32 s0, s0
	s_cbranch_execz .LBB35_2
; %bb.6:                                ;   in Loop: Header=BB35_3 Depth=1
	v_ffbh_u32_e32 v6, v1
	v_min_u32_e32 v8, 32, v6
	v_lshlrev_b64 v[6:7], v8, v[0:1]
	v_min_u32_e32 v6, 1, v6
	v_or_b32_e32 v6, v7, v6
	v_sub_nc_u32_e32 v7, 32, v8
	v_cvt_f32_u32_e32 v6, v6
	v_ldexp_f32 v6, v6, v7
	v_fma_f32 v6, s3, v6, s8
	s_branch .LBB35_2
.LBB35_7:
	s_endpgm
	.section	.rodata,"a",@progbits
	.p2align	6, 0x0
	.amdhsa_kernel _ZN12_GLOBAL__N_141elementwise_kernel_with_index_grid_strideIlZZZN2at6native17logspace_cuda_outERKN3c106ScalarES6_ldRNS1_6TensorEENKUlvE0_clEvENKUlvE0_clEvEUllE_EEvT_T0_PN15function_traitsISD_E11result_typeE
		.amdhsa_group_segment_fixed_size 0
		.amdhsa_private_segment_fixed_size 0
		.amdhsa_kernarg_size 312
		.amdhsa_user_sgpr_count 6
		.amdhsa_user_sgpr_private_segment_buffer 1
		.amdhsa_user_sgpr_dispatch_ptr 0
		.amdhsa_user_sgpr_queue_ptr 0
		.amdhsa_user_sgpr_kernarg_segment_ptr 1
		.amdhsa_user_sgpr_dispatch_id 0
		.amdhsa_user_sgpr_flat_scratch_init 0
		.amdhsa_user_sgpr_private_segment_size 0
		.amdhsa_wavefront_size32 1
		.amdhsa_uses_dynamic_stack 0
		.amdhsa_system_sgpr_private_segment_wavefront_offset 0
		.amdhsa_system_sgpr_workgroup_id_x 1
		.amdhsa_system_sgpr_workgroup_id_y 0
		.amdhsa_system_sgpr_workgroup_id_z 0
		.amdhsa_system_sgpr_workgroup_info 0
		.amdhsa_system_vgpr_workitem_id 0
		.amdhsa_next_free_vgpr 20
		.amdhsa_next_free_sgpr 20
		.amdhsa_reserve_vcc 1
		.amdhsa_reserve_flat_scratch 0
		.amdhsa_float_round_mode_32 0
		.amdhsa_float_round_mode_16_64 0
		.amdhsa_float_denorm_mode_32 3
		.amdhsa_float_denorm_mode_16_64 3
		.amdhsa_dx10_clamp 1
		.amdhsa_ieee_mode 1
		.amdhsa_fp16_overflow 0
		.amdhsa_workgroup_processor_mode 1
		.amdhsa_memory_ordered 1
		.amdhsa_forward_progress 1
		.amdhsa_shared_vgpr_count 0
		.amdhsa_exception_fp_ieee_invalid_op 0
		.amdhsa_exception_fp_denorm_src 0
		.amdhsa_exception_fp_ieee_div_zero 0
		.amdhsa_exception_fp_ieee_overflow 0
		.amdhsa_exception_fp_ieee_underflow 0
		.amdhsa_exception_fp_ieee_inexact 0
		.amdhsa_exception_int_div_zero 0
	.end_amdhsa_kernel
	.section	.text._ZN12_GLOBAL__N_141elementwise_kernel_with_index_grid_strideIlZZZN2at6native17logspace_cuda_outERKN3c106ScalarES6_ldRNS1_6TensorEENKUlvE0_clEvENKUlvE0_clEvEUllE_EEvT_T0_PN15function_traitsISD_E11result_typeE,"axG",@progbits,_ZN12_GLOBAL__N_141elementwise_kernel_with_index_grid_strideIlZZZN2at6native17logspace_cuda_outERKN3c106ScalarES6_ldRNS1_6TensorEENKUlvE0_clEvENKUlvE0_clEvEUllE_EEvT_T0_PN15function_traitsISD_E11result_typeE,comdat
.Lfunc_end35:
	.size	_ZN12_GLOBAL__N_141elementwise_kernel_with_index_grid_strideIlZZZN2at6native17logspace_cuda_outERKN3c106ScalarES6_ldRNS1_6TensorEENKUlvE0_clEvENKUlvE0_clEvEUllE_EEvT_T0_PN15function_traitsISD_E11result_typeE, .Lfunc_end35-_ZN12_GLOBAL__N_141elementwise_kernel_with_index_grid_strideIlZZZN2at6native17logspace_cuda_outERKN3c106ScalarES6_ldRNS1_6TensorEENKUlvE0_clEvENKUlvE0_clEvEUllE_EEvT_T0_PN15function_traitsISD_E11result_typeE
                                        ; -- End function
	.set _ZN12_GLOBAL__N_141elementwise_kernel_with_index_grid_strideIlZZZN2at6native17logspace_cuda_outERKN3c106ScalarES6_ldRNS1_6TensorEENKUlvE0_clEvENKUlvE0_clEvEUllE_EEvT_T0_PN15function_traitsISD_E11result_typeE.num_vgpr, 20
	.set _ZN12_GLOBAL__N_141elementwise_kernel_with_index_grid_strideIlZZZN2at6native17logspace_cuda_outERKN3c106ScalarES6_ldRNS1_6TensorEENKUlvE0_clEvENKUlvE0_clEvEUllE_EEvT_T0_PN15function_traitsISD_E11result_typeE.num_agpr, 0
	.set _ZN12_GLOBAL__N_141elementwise_kernel_with_index_grid_strideIlZZZN2at6native17logspace_cuda_outERKN3c106ScalarES6_ldRNS1_6TensorEENKUlvE0_clEvENKUlvE0_clEvEUllE_EEvT_T0_PN15function_traitsISD_E11result_typeE.numbered_sgpr, 20
	.set _ZN12_GLOBAL__N_141elementwise_kernel_with_index_grid_strideIlZZZN2at6native17logspace_cuda_outERKN3c106ScalarES6_ldRNS1_6TensorEENKUlvE0_clEvENKUlvE0_clEvEUllE_EEvT_T0_PN15function_traitsISD_E11result_typeE.num_named_barrier, 0
	.set _ZN12_GLOBAL__N_141elementwise_kernel_with_index_grid_strideIlZZZN2at6native17logspace_cuda_outERKN3c106ScalarES6_ldRNS1_6TensorEENKUlvE0_clEvENKUlvE0_clEvEUllE_EEvT_T0_PN15function_traitsISD_E11result_typeE.private_seg_size, 0
	.set _ZN12_GLOBAL__N_141elementwise_kernel_with_index_grid_strideIlZZZN2at6native17logspace_cuda_outERKN3c106ScalarES6_ldRNS1_6TensorEENKUlvE0_clEvENKUlvE0_clEvEUllE_EEvT_T0_PN15function_traitsISD_E11result_typeE.uses_vcc, 1
	.set _ZN12_GLOBAL__N_141elementwise_kernel_with_index_grid_strideIlZZZN2at6native17logspace_cuda_outERKN3c106ScalarES6_ldRNS1_6TensorEENKUlvE0_clEvENKUlvE0_clEvEUllE_EEvT_T0_PN15function_traitsISD_E11result_typeE.uses_flat_scratch, 0
	.set _ZN12_GLOBAL__N_141elementwise_kernel_with_index_grid_strideIlZZZN2at6native17logspace_cuda_outERKN3c106ScalarES6_ldRNS1_6TensorEENKUlvE0_clEvENKUlvE0_clEvEUllE_EEvT_T0_PN15function_traitsISD_E11result_typeE.has_dyn_sized_stack, 0
	.set _ZN12_GLOBAL__N_141elementwise_kernel_with_index_grid_strideIlZZZN2at6native17logspace_cuda_outERKN3c106ScalarES6_ldRNS1_6TensorEENKUlvE0_clEvENKUlvE0_clEvEUllE_EEvT_T0_PN15function_traitsISD_E11result_typeE.has_recursion, 0
	.set _ZN12_GLOBAL__N_141elementwise_kernel_with_index_grid_strideIlZZZN2at6native17logspace_cuda_outERKN3c106ScalarES6_ldRNS1_6TensorEENKUlvE0_clEvENKUlvE0_clEvEUllE_EEvT_T0_PN15function_traitsISD_E11result_typeE.has_indirect_call, 0
	.section	.AMDGPU.csdata,"",@progbits
; Kernel info:
; codeLenInByte = 1344
; TotalNumSgprs: 22
; NumVgprs: 20
; ScratchSize: 0
; MemoryBound: 0
; FloatMode: 240
; IeeeMode: 1
; LDSByteSize: 0 bytes/workgroup (compile time only)
; SGPRBlocks: 0
; VGPRBlocks: 2
; NumSGPRsForWavesPerEU: 22
; NumVGPRsForWavesPerEU: 20
; Occupancy: 16
; WaveLimiterHint : 0
; COMPUTE_PGM_RSRC2:SCRATCH_EN: 0
; COMPUTE_PGM_RSRC2:USER_SGPR: 6
; COMPUTE_PGM_RSRC2:TRAP_HANDLER: 0
; COMPUTE_PGM_RSRC2:TGID_X_EN: 1
; COMPUTE_PGM_RSRC2:TGID_Y_EN: 0
; COMPUTE_PGM_RSRC2:TGID_Z_EN: 0
; COMPUTE_PGM_RSRC2:TIDIG_COMP_CNT: 0
	.text
	.p2align	2                               ; -- Begin function _ZN16c10_complex_math3powIdEEN3c107complexIT_EERKS4_S6_
	.type	_ZN16c10_complex_math3powIdEEN3c107complexIT_EERKS4_S6_,@function
_ZN16c10_complex_math3powIdEEN3c107complexIT_EERKS4_S6_: ; @_ZN16c10_complex_math3powIdEEN3c107complexIT_EERKS4_S6_
; %bb.0:
                                        ; implicit-def: $vgpr12_vgpr13
                                        ; implicit-def: $vgpr14_vgpr15
	s_waitcnt vmcnt(0) expcnt(0) lgkmcnt(0)
	s_mov_b32 s4, exec_lo
	v_cmpx_o_f64_e32 v[0:1], v[2:3]
	s_xor_b32 s14, exec_lo, s4
	s_cbranch_execz .LBB36_28
; %bb.1:
	v_cmp_lt_f64_e64 s4, |v[0:1]|, |v[2:3]|
	v_and_b32_e32 v8, 0x7fffffff, v1
	v_and_b32_e32 v9, 0x7fffffff, v3
	v_mov_b32_e32 v16, v2
	s_mov_b32 s6, 0x85ebc8a0
	s_mov_b32 s7, 0x7fd1ccf3
                                        ; implicit-def: $vgpr12_vgpr13
                                        ; implicit-def: $vgpr14_vgpr15
	s_mov_b32 s5, exec_lo
	v_cndmask_b32_e64 v11, v9, v8, s4
	v_cndmask_b32_e64 v10, v2, v0, s4
	v_cmpx_nlt_f64_e32 s[6:7], v[10:11]
	s_xor_b32 s15, exec_lo, s5
	s_cbranch_execz .LBB36_25
; %bb.2:
	v_cndmask_b32_e64 v17, v8, v9, s4
	v_cndmask_b32_e64 v16, v0, v16, s4
                                        ; implicit-def: $vgpr12_vgpr13
                                        ; implicit-def: $vgpr14_vgpr15
	s_mov_b32 s5, exec_lo
	v_cmpx_neq_f64_e32 1.0, v[16:17]
	s_xor_b32 s16, exec_lo, s5
	s_cbranch_execz .LBB36_18
; %bb.3:
	v_max_f64 v[8:9], v[10:11], v[10:11]
	v_max_f64 v[12:13], v[16:17], v[16:17]
	s_mov_b32 s6, 0x4ad4b81f
	s_mov_b32 s8, 0xc57e649a
	;; [unrolled: 1-line block ×4, first 2 shown]
	v_min_f64 v[14:15], v[12:13], v[8:9]
	v_max_f64 v[8:9], v[12:13], v[8:9]
                                        ; implicit-def: $vgpr12_vgpr13
	v_cmp_ngt_f64_e32 vcc_lo, s[6:7], v[14:15]
	v_cmp_nlt_f64_e64 s5, s[8:9], v[8:9]
                                        ; implicit-def: $vgpr14_vgpr15
	s_and_b32 s5, s5, vcc_lo
	s_and_saveexec_b32 s6, s5
	s_xor_b32 s17, exec_lo, s6
	s_cbranch_execz .LBB36_15
; %bb.4:
                                        ; implicit-def: $vgpr12_vgpr13
                                        ; implicit-def: $vgpr14_vgpr15
	s_mov_b32 s5, exec_lo
	v_cmpx_le_f64_e32 1.0, v[16:17]
	s_xor_b32 s8, exec_lo, s5
	s_cbranch_execz .LBB36_6
; %bb.5:
	v_add_f64 v[8:9], v[16:17], -1.0
	v_add_f64 v[12:13], v[16:17], 1.0
	s_mov_b32 s7, 0x3fe55555
	s_mov_b32 s6, 0x55555555
	;; [unrolled: 1-line block ×8, first 2 shown]
	v_cmp_eq_f64_e64 s5, 0, v[2:3]
	v_cmp_class_f64_e64 s9, v[2:3], 0x204
	v_mul_f64 v[8:9], v[8:9], v[12:13]
	v_fma_f64 v[8:9], v[10:11], v[10:11], v[8:9]
	v_add_f64 v[10:11], v[8:9], 1.0
	v_frexp_mant_f64_e32 v[12:13], v[10:11]
	v_frexp_exp_i32_f64_e32 v16, v[10:11]
	v_add_f64 v[14:15], v[10:11], -1.0
	v_cmp_gt_f64_e32 vcc_lo, s[6:7], v[12:13]
	s_mov_b32 s6, 0x55555780
	v_add_f64 v[12:13], v[14:15], -v[10:11]
	v_add_f64 v[14:15], v[8:9], -v[14:15]
	v_subrev_co_ci_u32_e64 v48, null, 0, v16, vcc_lo
	v_add_f64 v[12:13], v[12:13], 1.0
	v_sub_nc_u32_e32 v18, 0, v48
	v_ldexp_f64 v[10:11], v[10:11], v18
	v_add_f64 v[12:13], v[14:15], v[12:13]
	v_add_f64 v[16:17], v[10:11], 1.0
	v_add_f64 v[22:23], v[10:11], -1.0
	v_ldexp_f64 v[12:13], v[12:13], v18
	v_add_f64 v[14:15], v[16:17], -1.0
	v_add_f64 v[24:25], v[22:23], 1.0
	v_add_f64 v[14:15], v[10:11], -v[14:15]
	v_add_f64 v[10:11], v[10:11], -v[24:25]
	v_add_f64 v[14:15], v[12:13], v[14:15]
	v_add_f64 v[10:11], v[12:13], v[10:11]
	;; [unrolled: 1-line block ×4, first 2 shown]
	v_rcp_f64_e32 v[20:21], v[18:19]
	v_add_f64 v[16:17], v[18:19], -v[16:17]
	v_add_f64 v[22:23], v[24:25], -v[22:23]
	;; [unrolled: 1-line block ×3, first 2 shown]
	v_fma_f64 v[26:27], -v[18:19], v[20:21], 1.0
	v_add_f64 v[10:11], v[10:11], -v[22:23]
	v_fma_f64 v[20:21], v[26:27], v[20:21], v[20:21]
	v_fma_f64 v[12:13], -v[18:19], v[20:21], 1.0
	v_fma_f64 v[12:13], v[12:13], v[20:21], v[20:21]
	v_mul_f64 v[20:21], v[24:25], v[12:13]
	v_mul_f64 v[26:27], v[18:19], v[20:21]
	v_fma_f64 v[16:17], v[20:21], v[18:19], -v[26:27]
	v_fma_f64 v[16:17], v[20:21], v[14:15], v[16:17]
	v_add_f64 v[28:29], v[26:27], v[16:17]
	v_add_f64 v[30:31], v[24:25], -v[28:29]
	v_add_f64 v[22:23], v[28:29], -v[26:27]
	v_max_f64 v[26:27], |v[2:3]|, |v[2:3]|
	v_add_f64 v[24:25], v[24:25], -v[30:31]
	v_add_f64 v[16:17], v[22:23], -v[16:17]
	v_add_f64 v[24:25], v[24:25], -v[28:29]
	v_max_f64 v[28:29], |v[0:1]|, |v[0:1]|
	v_add_f64 v[10:11], v[10:11], v[24:25]
	v_max_f64 v[32:33], v[28:29], v[26:27]
	v_min_f64 v[26:27], v[28:29], v[26:27]
	v_add_f64 v[10:11], v[16:17], v[10:11]
	v_add_f64 v[16:17], v[30:31], v[10:11]
	v_mul_f64 v[22:23], v[12:13], v[16:17]
	v_add_f64 v[30:31], v[30:31], -v[16:17]
	v_mul_f64 v[24:25], v[18:19], v[22:23]
	v_add_f64 v[10:11], v[10:11], v[30:31]
	v_fma_f64 v[18:19], v[22:23], v[18:19], -v[24:25]
	v_fma_f64 v[14:15], v[22:23], v[14:15], v[18:19]
	v_div_scale_f64 v[18:19], null, v[32:33], v[32:33], v[26:27]
	v_add_f64 v[28:29], v[24:25], v[14:15]
	v_rcp_f64_e32 v[34:35], v[18:19]
	v_add_f64 v[36:37], v[16:17], -v[28:29]
	v_add_f64 v[24:25], v[28:29], -v[24:25]
	v_fma_f64 v[38:39], -v[18:19], v[34:35], 1.0
	v_add_f64 v[16:17], v[16:17], -v[36:37]
	v_add_f64 v[14:15], v[24:25], -v[14:15]
	v_fma_f64 v[34:35], v[34:35], v[38:39], v[34:35]
	v_add_f64 v[16:17], v[16:17], -v[28:29]
	v_fma_f64 v[28:29], -v[18:19], v[34:35], 1.0
	v_add_f64 v[10:11], v[10:11], v[16:17]
	v_div_scale_f64 v[16:17], vcc_lo, v[26:27], v[32:33], v[26:27]
	v_fma_f64 v[24:25], v[34:35], v[28:29], v[34:35]
	v_add_f64 v[28:29], v[20:21], v[22:23]
	v_add_f64 v[10:11], v[14:15], v[10:11]
	v_mul_f64 v[14:15], v[16:17], v[24:25]
	v_add_f64 v[20:21], v[28:29], -v[20:21]
	v_add_f64 v[10:11], v[36:37], v[10:11]
	v_fma_f64 v[16:17], -v[18:19], v[14:15], v[16:17]
	v_add_f64 v[18:19], v[22:23], -v[20:21]
	v_mul_f64 v[10:11], v[12:13], v[10:11]
	v_div_fmas_f64 v[12:13], v[16:17], v[24:25], v[14:15]
	v_cmp_gt_i32_e32 vcc_lo, 0, v1
	v_add_f64 v[10:11], v[18:19], v[10:11]
	v_div_fixup_f64 v[12:13], v[12:13], v[32:33], v[26:27]
	v_add_f64 v[14:15], v[28:29], v[10:11]
	v_mul_f64 v[16:17], v[12:13], v[12:13]
	v_mul_f64 v[18:19], v[14:15], v[14:15]
	v_fma_f64 v[20:21], v[16:17], s[12:13], s[10:11]
	s_mov_b32 s10, 0xbf559e2b
	s_mov_b32 s11, 0x3fc3ab76
	v_fma_f64 v[22:23], v[18:19], s[10:11], s[18:19]
	s_mov_b32 s10, 0x69efb384
	s_mov_b32 s11, 0x3f4b2bb0
	v_mul_f64 v[24:25], v[14:15], v[18:19]
	v_fma_f64 v[20:21], v[16:17], v[20:21], s[10:11]
	s_mov_b32 s10, 0xd7f4df2e
	s_mov_b32 s11, 0x3fc7474d
	v_fma_f64 v[22:23], v[18:19], v[22:23], s[10:11]
	s_mov_b32 s10, 0xaf56de9b
	s_mov_b32 s11, 0xbf67952d
	;; [unrolled: 3-line block ×10, first 2 shown]
	v_ldexp_f64 v[22:23], v[14:15], 1
	v_fma_f64 v[20:21], v[16:17], v[20:21], s[6:7]
	s_mov_b32 s6, 0x5711927a
	s_mov_b32 s7, 0x3fa2c15b
	v_add_f64 v[14:15], v[14:15], -v[28:29]
	v_mul_f64 v[18:19], v[24:25], v[18:19]
	v_cvt_f64_i32_e32 v[24:25], v48
	v_fma_f64 v[20:21], v[16:17], v[20:21], s[6:7]
	s_mov_b32 s6, 0xe82d3ff0
	s_mov_b32 s7, 0xbfa59976
	v_add_f64 v[10:11], v[10:11], -v[14:15]
	v_add_f64 v[26:27], v[22:23], v[18:19]
	v_mul_f64 v[28:29], v[24:25], s[10:11]
	v_fma_f64 v[20:21], v[16:17], v[20:21], s[6:7]
	s_mov_b32 s6, 0x6ef28734
	s_mov_b32 s7, 0x3fa82d5d
	v_ldexp_f64 v[10:11], v[10:11], 1
	v_add_f64 v[14:15], v[26:27], -v[22:23]
	v_fma_f64 v[22:23], v[24:25], s[10:11], -v[28:29]
	v_cmp_class_f64_e64 s10, v[0:1], 0x204
	v_mov_b32_e32 v0, 0x4002d97c
	v_fma_f64 v[20:21], v[16:17], v[20:21], s[6:7]
	s_mov_b32 s6, 0x6a214619
	s_mov_b32 s7, 0xbfaae5ce
	v_cndmask_b32_e32 v0, 0x3fe921fb, v0, vcc_lo
	v_bfi_b32 v0, 0x7fffffff, v0, v3
	v_add_f64 v[14:15], v[18:19], -v[14:15]
	v_fma_f64 v[18:19], v[16:17], v[20:21], s[6:7]
	s_mov_b32 s6, 0x3b39803f
	s_mov_b32 s7, 0x3c7abc9e
	v_fma_f64 v[20:21], v[24:25], s[6:7], v[22:23]
	s_mov_b32 s6, 0x8427b883
	s_mov_b32 s7, 0x3fae1bb4
	v_add_f64 v[10:11], v[10:11], v[14:15]
	v_fma_f64 v[14:15], v[16:17], v[18:19], s[6:7]
	s_mov_b32 s6, 0x8b207f05
	s_mov_b32 s7, 0xbfb110e4
	v_add_f64 v[18:19], v[28:29], v[20:21]
	v_add_f64 v[22:23], v[26:27], v[10:11]
	v_fma_f64 v[14:15], v[16:17], v[14:15], s[6:7]
	s_mov_b32 s6, 0x57b87036
	s_mov_b32 s7, 0x3fb3b136
	v_add_f64 v[28:29], v[18:19], -v[28:29]
	v_add_f64 v[24:25], v[18:19], v[22:23]
	v_add_f64 v[26:27], v[22:23], -v[26:27]
	v_fma_f64 v[14:15], v[16:17], v[14:15], s[6:7]
	s_mov_b32 s6, 0x19378e4f
	s_mov_b32 s7, 0xbfb745d1
	v_add_f64 v[20:21], v[20:21], -v[28:29]
	v_add_f64 v[30:31], v[24:25], -v[18:19]
	v_add_f64 v[10:11], v[10:11], -v[26:27]
	v_fma_f64 v[14:15], v[16:17], v[14:15], s[6:7]
	s_mov_b32 s6, 0x17e1913c
	s_mov_b32 s7, 0x3fbc71c7
	v_add_f64 v[32:33], v[24:25], -v[30:31]
	v_add_f64 v[22:23], v[22:23], -v[30:31]
	v_add_f64 v[26:27], v[20:21], v[10:11]
	v_fma_f64 v[14:15], v[16:17], v[14:15], s[6:7]
	s_mov_b32 s6, 0x92376b7d
	s_mov_b32 s7, 0xbfc24924
	v_add_f64 v[18:19], v[18:19], -v[32:33]
	v_fma_f64 v[14:15], v[16:17], v[14:15], s[6:7]
	s_mov_b32 s6, 0x999952cc
	s_mov_b32 s7, 0x3fc99999
	v_add_f64 v[18:19], v[22:23], v[18:19]
	v_add_f64 v[22:23], v[26:27], -v[20:21]
	v_fma_f64 v[14:15], v[16:17], v[14:15], s[6:7]
	s_mov_b32 s6, 0x55555523
	s_mov_b32 s7, 0xbfd55555
	v_add_f64 v[18:19], v[26:27], v[18:19]
	v_add_f64 v[26:27], v[26:27], -v[22:23]
	v_add_f64 v[10:11], v[10:11], -v[22:23]
	v_fma_f64 v[14:15], v[16:17], v[14:15], s[6:7]
	s_mov_b32 s6, 0x54442d18
	s_mov_b32 s7, 0x3ff921fb
	v_add_f64 v[28:29], v[24:25], v[18:19]
	v_mul_f64 v[14:15], v[16:17], v[14:15]
	v_add_f64 v[16:17], v[20:21], -v[26:27]
	v_add_f64 v[20:21], v[28:29], -v[24:25]
	v_fma_f64 v[12:13], v[12:13], v[14:15], v[12:13]
	v_add_f64 v[10:11], v[10:11], v[16:17]
	v_add_f64 v[14:15], v[18:19], -v[20:21]
	v_add_f64 v[16:17], -v[12:13], s[6:7]
	s_mov_b32 s7, 0x400921fb
	v_add_f64 v[10:11], v[10:11], v[14:15]
	v_cndmask_b32_e64 v13, v13, v17, s4
	v_cndmask_b32_e64 v12, v12, v16, s4
	v_ashrrev_i32_e32 v17, 31, v1
	v_mov_b32_e32 v16, 0x7f3321d2
	v_add_f64 v[14:15], -v[12:13], s[6:7]
	v_cmp_nge_f64_e64 s6, -1.0, v[8:9]
	v_cmp_neq_f64_e64 s7, 0x7ff00000, v[8:9]
	v_and_b32_e32 v18, 0x54442d18, v17
	v_and_b32_e32 v1, 0x400921fb, v17
	v_cndmask_b32_e32 v16, 0x54442d18, v16, vcc_lo
	v_add_f64 v[10:11], v[28:29], v[10:11]
	v_cndmask_b32_e32 v12, v12, v14, vcc_lo
	v_cndmask_b32_e32 v13, v13, v15, vcc_lo
	v_cmp_ngt_f64_e32 vcc_lo, -1.0, v[8:9]
	v_cndmask_b32_e64 v14, v12, v18, s5
	v_cndmask_b32_e64 v1, v13, v1, s5
	s_and_b32 s5, s6, s7
	v_mul_f64 v[10:11], v[10:11], 0.5
	v_cndmask_b32_e64 v12, 0, v10, s5
	v_cmp_neq_f64_e64 s5, -1.0, v[8:9]
	v_cndmask_b32_e64 v11, 0x7ff00000, v11, s7
	v_cndmask_b32_e32 v11, 0x7ff80000, v11, vcc_lo
	s_and_b32 vcc_lo, s10, s9
	v_cndmask_b32_e32 v15, v1, v0, vcc_lo
	v_cndmask_b32_e32 v14, v14, v16, vcc_lo
                                        ; implicit-def: $vgpr0_vgpr1
                                        ; implicit-def: $vgpr16_vgpr17
	v_cndmask_b32_e64 v13, 0xfff00000, v11, s5
                                        ; implicit-def: $vgpr10_vgpr11
.LBB36_6:
	s_andn2_saveexec_b32 s18, s8
	s_cbranch_execz .LBB36_14
; %bb.7:
	v_mul_f64 v[8:9], v[10:11], v[10:11]
	s_mov_b32 s6, 0x66666666
	s_mov_b32 s7, 0x3fe66666
                                        ; implicit-def: $vgpr12_vgpr13
                                        ; implicit-def: $vgpr14_vgpr15
	s_mov_b32 s5, exec_lo
	v_fma_f64 v[8:9], v[16:17], v[16:17], v[8:9]
	v_cmpx_ge_f64_e32 s[6:7], v[8:9]
	s_xor_b32 s8, exec_lo, s5
	s_cbranch_execz .LBB36_9
; %bb.8:
	v_frexp_mant_f64_e32 v[10:11], v[8:9]
	s_mov_b32 s7, 0x3fe55555
	s_mov_b32 s6, 0x55555555
	v_max_f64 v[20:21], |v[0:1]|, |v[0:1]|
	s_mov_b32 s10, 0xbd3237f4
	s_mov_b32 s12, 0xb5e68a13
	;; [unrolled: 1-line block ×4, first 2 shown]
	v_cmp_class_f64_e64 s9, v[0:1], 0x204
	v_cmp_gt_f64_e64 s5, s[6:7], v[10:11]
	s_mov_b32 s6, 0x55555780
	v_cndmask_b32_e64 v12, 0, 1, s5
	v_ldexp_f64 v[10:11], v[10:11], v12
	v_add_f64 v[12:13], v[10:11], 1.0
	v_add_f64 v[18:19], v[10:11], -1.0
	v_rcp_f64_e32 v[14:15], v[12:13]
	v_fma_f64 v[16:17], -v[12:13], v[14:15], 1.0
	v_fma_f64 v[14:15], v[16:17], v[14:15], v[14:15]
	v_fma_f64 v[16:17], -v[12:13], v[14:15], 1.0
	v_fma_f64 v[14:15], v[16:17], v[14:15], v[14:15]
	v_max_f64 v[16:17], |v[2:3]|, |v[2:3]|
	v_mul_f64 v[22:23], v[18:19], v[14:15]
	v_max_f64 v[24:25], v[20:21], v[16:17]
	v_min_f64 v[16:17], v[20:21], v[16:17]
	v_add_f64 v[20:21], v[12:13], -1.0
	v_mul_f64 v[26:27], v[12:13], v[22:23]
	v_div_scale_f64 v[28:29], null, v[24:25], v[24:25], v[16:17]
	v_add_f64 v[10:11], v[10:11], -v[20:21]
	v_div_scale_f64 v[34:35], vcc_lo, v[16:17], v[24:25], v[16:17]
	v_fma_f64 v[12:13], v[22:23], v[12:13], -v[26:27]
	v_rcp_f64_e32 v[20:21], v[28:29]
	v_fma_f64 v[10:11], v[22:23], v[10:11], v[12:13]
	v_fma_f64 v[12:13], -v[28:29], v[20:21], 1.0
	v_add_f64 v[30:31], v[26:27], v[10:11]
	v_fma_f64 v[12:13], v[20:21], v[12:13], v[20:21]
	v_add_f64 v[20:21], v[18:19], -v[30:31]
	v_add_f64 v[26:27], v[30:31], -v[26:27]
	v_fma_f64 v[32:33], -v[28:29], v[12:13], 1.0
	v_add_f64 v[18:19], v[18:19], -v[20:21]
	v_add_f64 v[10:11], v[26:27], -v[10:11]
	v_fma_f64 v[12:13], v[12:13], v[32:33], v[12:13]
	v_add_f64 v[18:19], v[18:19], -v[30:31]
	v_mul_f64 v[26:27], v[34:35], v[12:13]
	v_add_f64 v[10:11], v[10:11], v[18:19]
	v_fma_f64 v[18:19], -v[28:29], v[26:27], v[34:35]
	v_frexp_exp_i32_f64_e32 v28, v[8:9]
	v_add_f64 v[10:11], v[20:21], v[10:11]
	v_div_fmas_f64 v[12:13], v[18:19], v[12:13], v[26:27]
	v_cmp_gt_i32_e32 vcc_lo, 0, v1
	v_mul_f64 v[10:11], v[14:15], v[10:11]
	v_div_fixup_f64 v[12:13], v[12:13], v[24:25], v[16:17]
	v_add_f64 v[14:15], v[22:23], v[10:11]
	v_mul_f64 v[16:17], v[12:13], v[12:13]
	v_mul_f64 v[18:19], v[14:15], v[14:15]
	v_fma_f64 v[20:21], v[16:17], s[12:13], s[10:11]
	s_mov_b32 s10, 0x6b47b09a
	s_mov_b32 s12, 0xbf559e2b
	;; [unrolled: 1-line block ×4, first 2 shown]
	v_fma_f64 v[24:25], v[18:19], s[12:13], s[10:11]
	s_mov_b32 s10, 0x69efb384
	s_mov_b32 s11, 0x3f4b2bb0
	v_mul_f64 v[26:27], v[14:15], v[18:19]
	v_fma_f64 v[20:21], v[16:17], v[20:21], s[10:11]
	s_mov_b32 s10, 0xd7f4df2e
	s_mov_b32 s11, 0x3fc7474d
	v_fma_f64 v[24:25], v[18:19], v[24:25], s[10:11]
	s_mov_b32 s10, 0xaf56de9b
	s_mov_b32 s11, 0xbf67952d
	;; [unrolled: 3-line block ×10, first 2 shown]
	v_ldexp_f64 v[24:25], v[14:15], 1
	v_fma_f64 v[20:21], v[16:17], v[20:21], s[6:7]
	s_mov_b32 s6, 0x5711927a
	s_mov_b32 s7, 0x3fa2c15b
	v_add_f64 v[14:15], v[14:15], -v[22:23]
	v_mul_f64 v[18:19], v[26:27], v[18:19]
	v_subrev_co_ci_u32_e64 v26, null, 0, v28, s5
	v_cmp_eq_f64_e64 s5, 0, v[2:3]
	v_fma_f64 v[20:21], v[16:17], v[20:21], s[6:7]
	s_mov_b32 s6, 0xe82d3ff0
	v_cvt_f64_i32_e32 v[26:27], v26
	s_mov_b32 s7, 0xbfa59976
	v_add_f64 v[10:11], v[10:11], -v[14:15]
	v_add_f64 v[22:23], v[24:25], v[18:19]
	v_fma_f64 v[20:21], v[16:17], v[20:21], s[6:7]
	s_mov_b32 s6, 0xfefa39ef
	s_mov_b32 s7, 0x3fe62e42
	v_mul_f64 v[28:29], v[26:27], s[6:7]
	v_ldexp_f64 v[10:11], v[10:11], 1
	v_add_f64 v[14:15], v[22:23], -v[24:25]
	v_fma_f64 v[20:21], v[16:17], v[20:21], s[10:11]
	v_fma_f64 v[24:25], v[26:27], s[6:7], -v[28:29]
	s_mov_b32 s6, 0x6a214619
	s_mov_b32 s7, 0xbfaae5ce
	v_add_f64 v[14:15], v[18:19], -v[14:15]
	v_fma_f64 v[18:19], v[16:17], v[20:21], s[6:7]
	s_mov_b32 s6, 0x3b39803f
	s_mov_b32 s7, 0x3c7abc9e
	v_fma_f64 v[20:21], v[26:27], s[6:7], v[24:25]
	s_mov_b32 s6, 0x8427b883
	s_mov_b32 s7, 0x3fae1bb4
	v_add_f64 v[10:11], v[10:11], v[14:15]
	v_fma_f64 v[14:15], v[16:17], v[18:19], s[6:7]
	s_mov_b32 s6, 0x8b207f05
	s_mov_b32 s7, 0xbfb110e4
	v_add_f64 v[18:19], v[28:29], v[20:21]
	v_add_f64 v[24:25], v[22:23], v[10:11]
	v_fma_f64 v[14:15], v[16:17], v[14:15], s[6:7]
	s_mov_b32 s6, 0x57b87036
	s_mov_b32 s7, 0x3fb3b136
	v_add_f64 v[28:29], v[18:19], -v[28:29]
	v_add_f64 v[26:27], v[18:19], v[24:25]
	v_add_f64 v[22:23], v[24:25], -v[22:23]
	v_fma_f64 v[14:15], v[16:17], v[14:15], s[6:7]
	s_mov_b32 s6, 0x19378e4f
	s_mov_b32 s7, 0xbfb745d1
	v_add_f64 v[20:21], v[20:21], -v[28:29]
	v_add_f64 v[30:31], v[26:27], -v[18:19]
	;; [unrolled: 1-line block ×3, first 2 shown]
	v_fma_f64 v[14:15], v[16:17], v[14:15], s[6:7]
	s_mov_b32 s6, 0x17e1913c
	s_mov_b32 s7, 0x3fbc71c7
	v_add_f64 v[32:33], v[26:27], -v[30:31]
	v_add_f64 v[22:23], v[24:25], -v[30:31]
	v_add_f64 v[24:25], v[20:21], v[10:11]
	v_fma_f64 v[14:15], v[16:17], v[14:15], s[6:7]
	s_mov_b32 s6, 0x92376b7d
	s_mov_b32 s7, 0xbfc24924
	v_add_f64 v[18:19], v[18:19], -v[32:33]
	v_fma_f64 v[14:15], v[16:17], v[14:15], s[6:7]
	s_mov_b32 s6, 0x999952cc
	s_mov_b32 s7, 0x3fc99999
	v_add_f64 v[18:19], v[22:23], v[18:19]
	v_add_f64 v[22:23], v[24:25], -v[20:21]
	v_fma_f64 v[14:15], v[16:17], v[14:15], s[6:7]
	s_mov_b32 s6, 0x55555523
	s_mov_b32 s7, 0xbfd55555
	v_add_f64 v[18:19], v[24:25], v[18:19]
	v_add_f64 v[24:25], v[24:25], -v[22:23]
	v_add_f64 v[10:11], v[10:11], -v[22:23]
	v_fma_f64 v[14:15], v[16:17], v[14:15], s[6:7]
	s_mov_b32 s6, 0x54442d18
	s_mov_b32 s7, 0x3ff921fb
	v_add_f64 v[28:29], v[26:27], v[18:19]
	v_mul_f64 v[14:15], v[16:17], v[14:15]
	v_add_f64 v[16:17], v[20:21], -v[24:25]
	v_add_f64 v[20:21], v[28:29], -v[26:27]
	v_fma_f64 v[12:13], v[12:13], v[14:15], v[12:13]
	v_add_f64 v[10:11], v[10:11], v[16:17]
	v_add_f64 v[14:15], v[18:19], -v[20:21]
	v_add_f64 v[16:17], -v[12:13], s[6:7]
	s_mov_b32 s7, 0x400921fb
	v_add_f64 v[10:11], v[10:11], v[14:15]
	v_cndmask_b32_e64 v13, v13, v17, s4
	v_cndmask_b32_e64 v12, v12, v16, s4
	v_ashrrev_i32_e32 v17, 31, v1
	v_mov_b32_e32 v16, 0x7f3321d2
	v_add_f64 v[14:15], -v[12:13], s[6:7]
	v_cmp_class_f64_e64 s7, v[2:3], 0x204
	v_cmp_neq_f64_e64 s6, 0, v[8:9]
	v_mov_b32_e32 v8, 0x4002d97c
	v_and_b32_e32 v18, 0x54442d18, v17
	v_and_b32_e32 v9, 0x400921fb, v17
	v_cndmask_b32_e32 v16, 0x54442d18, v16, vcc_lo
	v_cndmask_b32_e32 v8, 0x3fe921fb, v8, vcc_lo
	v_add_f64 v[10:11], v[28:29], v[10:11]
	v_bfi_b32 v8, 0x7fffffff, v8, v3
	v_cndmask_b32_e32 v12, v12, v14, vcc_lo
	v_mul_f64 v[0:1], v[10:11], 0.5
	v_cndmask_b32_e32 v10, v13, v15, vcc_lo
	v_cndmask_b32_e64 v11, v12, v18, s5
	s_and_b32 vcc_lo, s9, s7
	v_cndmask_b32_e64 v9, v10, v9, s5
	v_cndmask_b32_e32 v14, v11, v16, vcc_lo
                                        ; implicit-def: $vgpr16_vgpr17
                                        ; implicit-def: $vgpr10_vgpr11
	v_cndmask_b32_e32 v15, v9, v8, vcc_lo
	v_cndmask_b32_e64 v13, 0xfff00000, v1, s6
	v_cndmask_b32_e64 v12, 0, v0, s6
                                        ; implicit-def: $vgpr0_vgpr1
.LBB36_9:
	s_andn2_saveexec_b32 s19, s8
	s_cbranch_execz .LBB36_13
; %bb.10:
	v_mov_b32_e32 v8, 0
	v_and_b32_e32 v9, 0x7ffffff8, v17
	v_and_b32_e32 v13, 0x7ffffff8, v11
	s_mov_b32 s20, 0
	v_mov_b32_e32 v12, v8
	v_add_f64 v[14:15], v[16:17], -v[8:9]
	v_mov_b32_e32 v18, v8
	v_mov_b32_e32 v22, v8
	v_add_f64 v[26:27], v[8:9], v[8:9]
	v_add_f64 v[10:11], v[10:11], -v[12:13]
	v_add_f64 v[30:31], v[12:13], v[12:13]
	v_mul_f64 v[8:9], v[8:9], v[8:9]
	v_mul_f64 v[16:17], v[12:13], v[12:13]
	v_and_b32_e32 v19, -8, v15
	v_and_b32_e32 v23, -8, v11
	v_add_f64 v[28:29], v[14:15], -v[18:19]
	v_add_f64 v[32:33], v[18:19], v[18:19]
	v_mul_f64 v[24:25], v[26:27], v[18:19]
	v_mul_f64 v[14:15], v[18:19], v[18:19]
	v_add_f64 v[34:35], v[10:11], -v[22:23]
	v_add_f64 v[36:37], v[22:23], v[22:23]
	v_mul_f64 v[20:21], v[30:31], v[22:23]
	v_mul_f64 v[12:13], v[22:23], v[22:23]
	;; [unrolled: 1-line block ×8, first 2 shown]
.LBB36_11:                              ; =>This Inner Loop Header: Depth=1
	v_cmp_nlt_f64_e32 vcc_lo, v[8:9], v[16:17]
	v_cndmask_b32_e32 v33, v9, v17, vcc_lo
	v_cndmask_b32_e32 v32, v8, v16, vcc_lo
	;; [unrolled: 1-line block ×4, first 2 shown]
	v_cmp_nlt_f64_e64 s5, v[32:33], v[24:25]
	v_cndmask_b32_e64 v35, v33, v25, s5
	v_cndmask_b32_e64 v34, v32, v24, s5
	;; [unrolled: 1-line block ×4, first 2 shown]
	s_and_b32 s5, vcc_lo, s5
	v_cmp_nlt_f64_e64 s6, v[34:35], v[20:21]
	v_cndmask_b32_e64 v37, v35, v21, s6
	v_cndmask_b32_e64 v36, v34, v20, s6
	;; [unrolled: 1-line block ×4, first 2 shown]
	v_cmp_nlt_f64_e64 s7, v[36:37], v[14:15]
	v_cndmask_b32_e64 v39, v37, v15, s7
	v_cndmask_b32_e64 v38, v36, v14, s7
	;; [unrolled: 1-line block ×4, first 2 shown]
	s_and_b32 s6, s6, s7
	v_cmp_nlt_f64_e64 s8, v[38:39], v[12:13]
	v_cndmask_b32_e64 v49, v39, v13, s8
	v_cndmask_b32_e64 v48, v38, v12, s8
	v_cndmask_b32_e64 v15, v13, v39, s8
	v_cndmask_b32_e64 v14, v12, v38, s8
	v_cmp_nlt_f64_e64 s9, v[48:49], v[18:19]
	v_cndmask_b32_e64 v51, v49, v19, s9
	v_cndmask_b32_e64 v50, v48, v18, s9
	s_and_b32 s7, s8, s9
	v_cndmask_b32_e64 v13, v19, v49, s9
	v_cndmask_b32_e64 v12, v18, v48, s9
	v_cmp_nlt_f64_e64 s10, v[50:51], v[26:27]
	v_cndmask_b32_e64 v53, v51, v27, s10
	v_cndmask_b32_e64 v52, v50, v26, s10
	s_and_b32 s7, s7, s10
	v_cndmask_b32_e64 v19, v27, v51, s10
	v_cndmask_b32_e64 v18, v26, v50, s10
	;; [unrolled: 6-line block ×5, first 2 shown]
	v_cmp_nlt_f64_e32 vcc_lo, v[66:67], v[30:31]
	v_cndmask_b32_e32 v32, v66, v30, vcc_lo
	v_cndmask_b32_e32 v33, v67, v31, vcc_lo
	s_and_b32 s7, s7, vcc_lo
	v_cndmask_b32_e32 v29, v31, v67, vcc_lo
	s_and_b32 s6, s7, s6
	v_cndmask_b32_e32 v28, v30, v66, vcc_lo
	s_and_b32 s5, s6, s5
	v_mov_b32_e32 v30, v32
	v_mov_b32_e32 v31, v33
	s_and_b32 s5, exec_lo, s5
	s_or_b32 s20, s5, s20
	s_andn2_b32 exec_lo, exec_lo, s20
	s_cbranch_execnz .LBB36_11
; %bb.12:
	s_or_b32 exec_lo, exec_lo, s20
	v_add_f64 v[8:9], v[8:9], -1.0
	s_mov_b32 s7, 0x3fe55555
	s_mov_b32 s6, 0x55555555
	;; [unrolled: 1-line block ×8, first 2 shown]
	v_cmp_eq_f64_e64 s5, 0, v[2:3]
	v_add_f64 v[8:9], v[8:9], v[16:17]
	v_add_f64 v[8:9], v[8:9], v[24:25]
	v_add_f64 v[8:9], v[8:9], v[20:21]
	v_add_f64 v[8:9], v[8:9], v[14:15]
	v_add_f64 v[8:9], v[8:9], v[12:13]
	v_add_f64 v[8:9], v[8:9], v[18:19]
	v_add_f64 v[8:9], v[8:9], v[26:27]
	v_add_f64 v[8:9], v[8:9], v[10:11]
	v_add_f64 v[8:9], v[8:9], v[22:23]
	v_add_f64 v[8:9], v[8:9], v[28:29]
	v_add_f64 v[8:9], v[32:33], v[8:9]
	v_add_f64 v[10:11], v[8:9], 1.0
	v_frexp_mant_f64_e32 v[12:13], v[10:11]
	v_frexp_exp_i32_f64_e32 v16, v[10:11]
	v_add_f64 v[14:15], v[10:11], -1.0
	v_cmp_gt_f64_e32 vcc_lo, s[6:7], v[12:13]
	s_mov_b32 s6, 0x55555780
	v_add_f64 v[12:13], v[14:15], -v[10:11]
	v_add_f64 v[14:15], v[8:9], -v[14:15]
	v_subrev_co_ci_u32_e64 v48, null, 0, v16, vcc_lo
	v_add_f64 v[12:13], v[12:13], 1.0
	v_sub_nc_u32_e32 v18, 0, v48
	v_ldexp_f64 v[10:11], v[10:11], v18
	v_add_f64 v[12:13], v[14:15], v[12:13]
	v_add_f64 v[16:17], v[10:11], 1.0
	v_add_f64 v[22:23], v[10:11], -1.0
	v_ldexp_f64 v[12:13], v[12:13], v18
	v_add_f64 v[14:15], v[16:17], -1.0
	v_add_f64 v[24:25], v[22:23], 1.0
	v_add_f64 v[14:15], v[10:11], -v[14:15]
	v_add_f64 v[10:11], v[10:11], -v[24:25]
	v_add_f64 v[14:15], v[12:13], v[14:15]
	v_add_f64 v[10:11], v[12:13], v[10:11]
	;; [unrolled: 1-line block ×4, first 2 shown]
	v_rcp_f64_e32 v[20:21], v[18:19]
	v_add_f64 v[16:17], v[18:19], -v[16:17]
	v_add_f64 v[22:23], v[24:25], -v[22:23]
	;; [unrolled: 1-line block ×3, first 2 shown]
	v_fma_f64 v[26:27], -v[18:19], v[20:21], 1.0
	v_add_f64 v[10:11], v[10:11], -v[22:23]
	v_fma_f64 v[20:21], v[26:27], v[20:21], v[20:21]
	v_fma_f64 v[12:13], -v[18:19], v[20:21], 1.0
	v_fma_f64 v[12:13], v[12:13], v[20:21], v[20:21]
	v_mul_f64 v[20:21], v[24:25], v[12:13]
	v_mul_f64 v[26:27], v[18:19], v[20:21]
	v_fma_f64 v[16:17], v[20:21], v[18:19], -v[26:27]
	v_fma_f64 v[16:17], v[20:21], v[14:15], v[16:17]
	v_add_f64 v[28:29], v[26:27], v[16:17]
	v_add_f64 v[30:31], v[24:25], -v[28:29]
	v_add_f64 v[22:23], v[28:29], -v[26:27]
	v_max_f64 v[26:27], |v[2:3]|, |v[2:3]|
	v_add_f64 v[24:25], v[24:25], -v[30:31]
	v_add_f64 v[16:17], v[22:23], -v[16:17]
	;; [unrolled: 1-line block ×3, first 2 shown]
	v_max_f64 v[28:29], |v[0:1]|, |v[0:1]|
	v_add_f64 v[10:11], v[10:11], v[24:25]
	v_max_f64 v[32:33], v[28:29], v[26:27]
	v_min_f64 v[26:27], v[28:29], v[26:27]
	v_add_f64 v[10:11], v[16:17], v[10:11]
	v_add_f64 v[16:17], v[30:31], v[10:11]
	v_mul_f64 v[22:23], v[12:13], v[16:17]
	v_add_f64 v[30:31], v[30:31], -v[16:17]
	v_mul_f64 v[24:25], v[18:19], v[22:23]
	v_add_f64 v[10:11], v[10:11], v[30:31]
	v_fma_f64 v[18:19], v[22:23], v[18:19], -v[24:25]
	v_fma_f64 v[14:15], v[22:23], v[14:15], v[18:19]
	v_div_scale_f64 v[18:19], null, v[32:33], v[32:33], v[26:27]
	v_add_f64 v[28:29], v[24:25], v[14:15]
	v_rcp_f64_e32 v[34:35], v[18:19]
	v_add_f64 v[36:37], v[16:17], -v[28:29]
	v_add_f64 v[24:25], v[28:29], -v[24:25]
	v_fma_f64 v[38:39], -v[18:19], v[34:35], 1.0
	v_add_f64 v[16:17], v[16:17], -v[36:37]
	v_add_f64 v[14:15], v[24:25], -v[14:15]
	v_fma_f64 v[34:35], v[34:35], v[38:39], v[34:35]
	v_add_f64 v[16:17], v[16:17], -v[28:29]
	v_fma_f64 v[28:29], -v[18:19], v[34:35], 1.0
	v_add_f64 v[10:11], v[10:11], v[16:17]
	v_div_scale_f64 v[16:17], vcc_lo, v[26:27], v[32:33], v[26:27]
	v_fma_f64 v[24:25], v[34:35], v[28:29], v[34:35]
	v_add_f64 v[28:29], v[20:21], v[22:23]
	v_add_f64 v[10:11], v[14:15], v[10:11]
	v_mul_f64 v[14:15], v[16:17], v[24:25]
	v_add_f64 v[20:21], v[28:29], -v[20:21]
	v_add_f64 v[10:11], v[36:37], v[10:11]
	v_fma_f64 v[16:17], -v[18:19], v[14:15], v[16:17]
	v_add_f64 v[18:19], v[22:23], -v[20:21]
	v_mul_f64 v[10:11], v[12:13], v[10:11]
	v_div_fmas_f64 v[12:13], v[16:17], v[24:25], v[14:15]
	v_cmp_gt_i32_e32 vcc_lo, 0, v1
	v_add_f64 v[10:11], v[18:19], v[10:11]
	v_div_fixup_f64 v[12:13], v[12:13], v[32:33], v[26:27]
	v_add_f64 v[14:15], v[28:29], v[10:11]
	v_mul_f64 v[16:17], v[12:13], v[12:13]
	v_mul_f64 v[18:19], v[14:15], v[14:15]
	v_fma_f64 v[20:21], v[16:17], s[10:11], s[8:9]
	s_mov_b32 s8, 0xbf559e2b
	s_mov_b32 s9, 0x3fc3ab76
	v_fma_f64 v[22:23], v[18:19], s[8:9], s[12:13]
	s_mov_b32 s8, 0x69efb384
	s_mov_b32 s9, 0x3f4b2bb0
	v_mul_f64 v[24:25], v[14:15], v[18:19]
	v_fma_f64 v[20:21], v[16:17], v[20:21], s[8:9]
	s_mov_b32 s8, 0xd7f4df2e
	s_mov_b32 s9, 0x3fc7474d
	v_fma_f64 v[22:23], v[18:19], v[22:23], s[8:9]
	s_mov_b32 s8, 0xaf56de9b
	s_mov_b32 s9, 0xbf67952d
	;; [unrolled: 3-line block ×10, first 2 shown]
	v_ldexp_f64 v[22:23], v[14:15], 1
	v_fma_f64 v[20:21], v[16:17], v[20:21], s[6:7]
	s_mov_b32 s6, 0x5711927a
	s_mov_b32 s7, 0x3fa2c15b
	v_add_f64 v[14:15], v[14:15], -v[28:29]
	v_mul_f64 v[18:19], v[24:25], v[18:19]
	v_cvt_f64_i32_e32 v[24:25], v48
	v_fma_f64 v[20:21], v[16:17], v[20:21], s[6:7]
	s_mov_b32 s6, 0xe82d3ff0
	s_mov_b32 s7, 0xbfa59976
	v_add_f64 v[10:11], v[10:11], -v[14:15]
	v_add_f64 v[26:27], v[22:23], v[18:19]
	v_mul_f64 v[28:29], v[24:25], s[8:9]
	v_fma_f64 v[20:21], v[16:17], v[20:21], s[6:7]
	s_mov_b32 s6, 0x6ef28734
	s_mov_b32 s7, 0x3fa82d5d
	v_ldexp_f64 v[10:11], v[10:11], 1
	v_add_f64 v[14:15], v[26:27], -v[22:23]
	v_fma_f64 v[22:23], v[24:25], s[8:9], -v[28:29]
	v_cmp_class_f64_e64 s9, v[0:1], 0x204
	v_mov_b32_e32 v0, 0x4002d97c
	v_fma_f64 v[20:21], v[16:17], v[20:21], s[6:7]
	s_mov_b32 s6, 0x6a214619
	s_mov_b32 s7, 0xbfaae5ce
	v_cmp_class_f64_e64 s8, v[2:3], 0x204
	v_cndmask_b32_e32 v0, 0x3fe921fb, v0, vcc_lo
	v_bfi_b32 v0, 0x7fffffff, v0, v3
	v_add_f64 v[14:15], v[18:19], -v[14:15]
	v_fma_f64 v[18:19], v[16:17], v[20:21], s[6:7]
	s_mov_b32 s6, 0x3b39803f
	s_mov_b32 s7, 0x3c7abc9e
	v_fma_f64 v[20:21], v[24:25], s[6:7], v[22:23]
	s_mov_b32 s6, 0x8427b883
	s_mov_b32 s7, 0x3fae1bb4
	v_add_f64 v[10:11], v[10:11], v[14:15]
	v_fma_f64 v[14:15], v[16:17], v[18:19], s[6:7]
	s_mov_b32 s6, 0x8b207f05
	s_mov_b32 s7, 0xbfb110e4
	v_add_f64 v[18:19], v[28:29], v[20:21]
	v_add_f64 v[22:23], v[26:27], v[10:11]
	v_fma_f64 v[14:15], v[16:17], v[14:15], s[6:7]
	s_mov_b32 s6, 0x57b87036
	s_mov_b32 s7, 0x3fb3b136
	v_add_f64 v[28:29], v[18:19], -v[28:29]
	v_add_f64 v[24:25], v[18:19], v[22:23]
	v_add_f64 v[26:27], v[22:23], -v[26:27]
	v_fma_f64 v[14:15], v[16:17], v[14:15], s[6:7]
	s_mov_b32 s6, 0x19378e4f
	s_mov_b32 s7, 0xbfb745d1
	v_add_f64 v[20:21], v[20:21], -v[28:29]
	v_add_f64 v[30:31], v[24:25], -v[18:19]
	;; [unrolled: 1-line block ×3, first 2 shown]
	v_fma_f64 v[14:15], v[16:17], v[14:15], s[6:7]
	s_mov_b32 s6, 0x17e1913c
	s_mov_b32 s7, 0x3fbc71c7
	v_add_f64 v[32:33], v[24:25], -v[30:31]
	v_add_f64 v[22:23], v[22:23], -v[30:31]
	v_add_f64 v[26:27], v[20:21], v[10:11]
	v_fma_f64 v[14:15], v[16:17], v[14:15], s[6:7]
	s_mov_b32 s6, 0x92376b7d
	s_mov_b32 s7, 0xbfc24924
	v_add_f64 v[18:19], v[18:19], -v[32:33]
	v_fma_f64 v[14:15], v[16:17], v[14:15], s[6:7]
	s_mov_b32 s6, 0x999952cc
	s_mov_b32 s7, 0x3fc99999
	v_add_f64 v[18:19], v[22:23], v[18:19]
	v_add_f64 v[22:23], v[26:27], -v[20:21]
	v_fma_f64 v[14:15], v[16:17], v[14:15], s[6:7]
	s_mov_b32 s6, 0x55555523
	s_mov_b32 s7, 0xbfd55555
	v_add_f64 v[18:19], v[26:27], v[18:19]
	v_add_f64 v[26:27], v[26:27], -v[22:23]
	v_add_f64 v[10:11], v[10:11], -v[22:23]
	v_fma_f64 v[14:15], v[16:17], v[14:15], s[6:7]
	s_mov_b32 s6, 0x54442d18
	s_mov_b32 s7, 0x3ff921fb
	v_add_f64 v[28:29], v[24:25], v[18:19]
	v_mul_f64 v[14:15], v[16:17], v[14:15]
	v_add_f64 v[16:17], v[20:21], -v[26:27]
	v_add_f64 v[20:21], v[28:29], -v[24:25]
	v_fma_f64 v[12:13], v[12:13], v[14:15], v[12:13]
	v_add_f64 v[10:11], v[10:11], v[16:17]
	v_add_f64 v[14:15], v[18:19], -v[20:21]
	v_add_f64 v[16:17], -v[12:13], s[6:7]
	s_mov_b32 s7, 0x400921fb
	v_add_f64 v[10:11], v[10:11], v[14:15]
	v_cndmask_b32_e64 v13, v13, v17, s4
	v_cndmask_b32_e64 v12, v12, v16, s4
	v_ashrrev_i32_e32 v17, 31, v1
	v_mov_b32_e32 v16, 0x7f3321d2
	v_add_f64 v[14:15], -v[12:13], s[6:7]
	v_cmp_nge_f64_e64 s6, -1.0, v[8:9]
	v_cmp_neq_f64_e64 s7, 0x7ff00000, v[8:9]
	v_and_b32_e32 v18, 0x54442d18, v17
	v_and_b32_e32 v1, 0x400921fb, v17
	v_cndmask_b32_e32 v16, 0x54442d18, v16, vcc_lo
	v_add_f64 v[10:11], v[28:29], v[10:11]
	v_cndmask_b32_e32 v12, v12, v14, vcc_lo
	v_cndmask_b32_e32 v13, v13, v15, vcc_lo
	v_cmp_ngt_f64_e32 vcc_lo, -1.0, v[8:9]
	v_cndmask_b32_e64 v14, v12, v18, s5
	v_cndmask_b32_e64 v1, v13, v1, s5
	s_and_b32 s5, s6, s7
	v_mul_f64 v[10:11], v[10:11], 0.5
	v_cndmask_b32_e64 v12, 0, v10, s5
	v_cmp_neq_f64_e64 s5, -1.0, v[8:9]
	v_cndmask_b32_e64 v11, 0x7ff00000, v11, s7
	v_cndmask_b32_e32 v11, 0x7ff80000, v11, vcc_lo
	s_and_b32 vcc_lo, s9, s8
	v_cndmask_b32_e32 v15, v1, v0, vcc_lo
	v_cndmask_b32_e32 v14, v14, v16, vcc_lo
	v_cndmask_b32_e64 v13, 0xfff00000, v11, s5
.LBB36_13:
	s_or_b32 exec_lo, exec_lo, s19
.LBB36_14:
	s_or_b32 exec_lo, exec_lo, s18
                                        ; implicit-def: $vgpr0_vgpr1
.LBB36_15:
	s_andn2_saveexec_b32 s8, s17
	s_cbranch_execz .LBB36_17
; %bb.16:
	v_max_f64 v[8:9], |v[2:3]|, |v[2:3]|
	v_max_f64 v[10:11], |v[0:1]|, |v[0:1]|
	v_cmp_class_f64_e64 s9, v[0:1], 0x204
	v_cmp_class_f64_e64 s10, v[2:3], 0x204
	s_mov_b32 s7, 0x3fe55555
	s_mov_b32 s6, 0x55555555
	;; [unrolled: 1-line block ×6, first 2 shown]
	v_max_f64 v[12:13], v[10:11], v[8:9]
	v_min_f64 v[8:9], v[10:11], v[8:9]
	s_or_b32 s5, s9, s10
	v_frexp_exp_i32_f64_e32 v22, v[12:13]
	v_sub_nc_u32_e32 v16, 0, v22
	v_ldexp_f64 v[14:15], |v[2:3]|, v16
	v_ldexp_f64 v[16:17], |v[0:1]|, v16
	v_mul_f64 v[14:15], v[14:15], v[14:15]
	v_fma_f64 v[14:15], v[16:17], v[16:17], v[14:15]
	v_rsq_f64_e32 v[16:17], v[14:15]
	v_cmp_eq_f64_e32 vcc_lo, 0, v[14:15]
	v_mul_f64 v[18:19], v[14:15], v[16:17]
	v_mul_f64 v[16:17], v[16:17], 0.5
	v_fma_f64 v[20:21], -v[16:17], v[18:19], 0.5
	v_fma_f64 v[18:19], v[18:19], v[20:21], v[18:19]
	v_fma_f64 v[16:17], v[16:17], v[20:21], v[16:17]
	v_fma_f64 v[20:21], -v[18:19], v[18:19], v[14:15]
	v_fma_f64 v[16:17], v[20:21], v[16:17], v[18:19]
	v_cndmask_b32_e32 v15, v17, v15, vcc_lo
	v_cndmask_b32_e32 v14, v16, v14, vcc_lo
	v_div_scale_f64 v[34:35], vcc_lo, v[8:9], v[12:13], v[8:9]
	v_ldexp_f64 v[14:15], v[14:15], v22
	v_cndmask_b32_e64 v17, v15, 0x7ff00000, s5
	v_cndmask_b32_e64 v16, v14, 0, s5
	v_frexp_mant_f64_e32 v[14:15], v[16:17]
	v_cmp_gt_f64_e64 s5, s[6:7], v[14:15]
	s_mov_b32 s6, 0x55555780
	v_cndmask_b32_e64 v0, 0, 1, s5
	v_ldexp_f64 v[14:15], v[14:15], v0
	v_frexp_exp_i32_f64_e32 v0, v[16:17]
	v_add_f64 v[18:19], v[14:15], 1.0
	v_add_f64 v[24:25], v[14:15], -1.0
	v_subrev_co_ci_u32_e64 v0, null, 0, v0, s5
	v_cmp_class_f64_e64 s5, v[16:17], 0x204
	v_rcp_f64_e32 v[20:21], v[18:19]
	v_add_f64 v[26:27], v[18:19], -1.0
	v_add_f64 v[14:15], v[14:15], -v[26:27]
	v_fma_f64 v[22:23], -v[18:19], v[20:21], 1.0
	v_fma_f64 v[20:21], v[22:23], v[20:21], v[20:21]
	v_fma_f64 v[22:23], -v[18:19], v[20:21], 1.0
	v_fma_f64 v[20:21], v[22:23], v[20:21], v[20:21]
	v_div_scale_f64 v[22:23], null, v[12:13], v[12:13], v[8:9]
	v_mul_f64 v[10:11], v[24:25], v[20:21]
	v_rcp_f64_e32 v[30:31], v[22:23]
	v_mul_f64 v[28:29], v[18:19], v[10:11]
	v_fma_f64 v[26:27], -v[22:23], v[30:31], 1.0
	v_fma_f64 v[18:19], v[10:11], v[18:19], -v[28:29]
	v_fma_f64 v[14:15], v[10:11], v[14:15], v[18:19]
	v_fma_f64 v[18:19], v[30:31], v[26:27], v[30:31]
	v_add_f64 v[26:27], v[28:29], v[14:15]
	v_fma_f64 v[30:31], -v[22:23], v[18:19], 1.0
	v_add_f64 v[32:33], v[24:25], -v[26:27]
	v_fma_f64 v[18:19], v[18:19], v[30:31], v[18:19]
	v_add_f64 v[28:29], v[26:27], -v[28:29]
	v_add_f64 v[24:25], v[24:25], -v[32:33]
	v_mul_f64 v[30:31], v[34:35], v[18:19]
	v_add_f64 v[14:15], v[28:29], -v[14:15]
	v_add_f64 v[24:25], v[24:25], -v[26:27]
	v_fma_f64 v[22:23], -v[22:23], v[30:31], v[34:35]
	v_add_f64 v[14:15], v[14:15], v[24:25]
	v_div_fmas_f64 v[18:19], v[22:23], v[18:19], v[30:31]
	v_cmp_gt_i32_e32 vcc_lo, 0, v1
	v_add_f64 v[14:15], v[32:33], v[14:15]
	v_div_fixup_f64 v[8:9], v[18:19], v[12:13], v[8:9]
	v_mul_f64 v[12:13], v[20:21], v[14:15]
	v_mul_f64 v[14:15], v[8:9], v[8:9]
	v_add_f64 v[18:19], v[10:11], v[12:13]
	v_fma_f64 v[20:21], v[14:15], s[18:19], s[12:13]
	s_mov_b32 s18, 0x69efb384
	s_mov_b32 s19, 0x3f4b2bb0
	;; [unrolled: 1-line block ×4, first 2 shown]
	v_mul_f64 v[22:23], v[18:19], v[18:19]
	v_fma_f64 v[20:21], v[14:15], v[20:21], s[18:19]
	s_mov_b32 s18, 0xbf559e2b
	s_mov_b32 s19, 0x3fc3ab76
	v_add_f64 v[10:11], v[18:19], -v[10:11]
	v_fma_f64 v[24:25], v[22:23], s[18:19], s[12:13]
	s_mov_b32 s12, 0xaf56de9b
	s_mov_b32 s13, 0xbf67952d
	v_mul_f64 v[26:27], v[18:19], v[22:23]
	v_fma_f64 v[20:21], v[14:15], v[20:21], s[12:13]
	s_mov_b32 s12, 0xd7f4df2e
	s_mov_b32 s13, 0x3fc7474d
	v_add_f64 v[10:11], v[12:13], -v[10:11]
	v_fma_f64 v[24:25], v[22:23], v[24:25], s[12:13]
	s_mov_b32 s12, 0xa595c56f
	s_mov_b32 s13, 0x3f7d6d43
	v_fma_f64 v[20:21], v[14:15], v[20:21], s[12:13]
	s_mov_b32 s12, 0x16291751
	s_mov_b32 s13, 0x3fcc71c0
	v_ldexp_f64 v[10:11], v[10:11], 1
	v_fma_f64 v[24:25], v[22:23], v[24:25], s[12:13]
	s_mov_b32 s12, 0xa57d9582
	s_mov_b32 s13, 0xbf8c6ea4
	v_fma_f64 v[20:21], v[14:15], v[20:21], s[12:13]
	s_mov_b32 s12, 0x9b27acf1
	s_mov_b32 s13, 0x3fd24924
	;; [unrolled: 3-line block ×7, first 2 shown]
	v_ldexp_f64 v[24:25], v[18:19], 1
	v_fma_f64 v[20:21], v[14:15], v[20:21], s[6:7]
	s_mov_b32 s6, 0xe82d3ff0
	s_mov_b32 s7, 0xbfa59976
	v_mul_f64 v[22:23], v[26:27], v[22:23]
	v_cvt_f64_i32_e32 v[26:27], v0
	v_mov_b32_e32 v0, 0x7f3321d2
	v_fma_f64 v[20:21], v[14:15], v[20:21], s[6:7]
	s_mov_b32 s6, 0xfefa39ef
	s_mov_b32 s7, 0x3fe62e42
	v_add_f64 v[18:19], v[24:25], v[22:23]
	v_mul_f64 v[28:29], v[26:27], s[6:7]
	v_fma_f64 v[20:21], v[14:15], v[20:21], s[12:13]
	s_mov_b32 s12, 0x6a214619
	s_mov_b32 s13, 0xbfaae5ce
	v_add_f64 v[12:13], v[18:19], -v[24:25]
	v_fma_f64 v[24:25], v[26:27], s[6:7], -v[28:29]
	s_mov_b32 s6, 0x8427b883
	s_mov_b32 s7, 0x3fae1bb4
	v_fma_f64 v[20:21], v[14:15], v[20:21], s[12:13]
	s_mov_b32 s12, 0x3b39803f
	s_mov_b32 s13, 0x3c7abc9e
	v_add_f64 v[12:13], v[22:23], -v[12:13]
	v_fma_f64 v[22:23], v[26:27], s[12:13], v[24:25]
	v_fma_f64 v[20:21], v[14:15], v[20:21], s[6:7]
	s_mov_b32 s6, 0x8b207f05
	s_mov_b32 s7, 0xbfb110e4
	v_add_f64 v[10:11], v[10:11], v[12:13]
	v_fma_f64 v[12:13], v[14:15], v[20:21], s[6:7]
	v_add_f64 v[20:21], v[28:29], v[22:23]
	s_mov_b32 s6, 0x57b87036
	s_mov_b32 s7, 0x3fb3b136
	v_add_f64 v[24:25], v[18:19], v[10:11]
	v_fma_f64 v[12:13], v[14:15], v[12:13], s[6:7]
	s_mov_b32 s6, 0x19378e4f
	s_mov_b32 s7, 0xbfb745d1
	v_add_f64 v[28:29], v[20:21], -v[28:29]
	v_add_f64 v[26:27], v[20:21], v[24:25]
	v_add_f64 v[18:19], v[24:25], -v[18:19]
	v_fma_f64 v[12:13], v[14:15], v[12:13], s[6:7]
	s_mov_b32 s6, 0x17e1913c
	s_mov_b32 s7, 0x3fbc71c7
	v_add_f64 v[22:23], v[22:23], -v[28:29]
	v_add_f64 v[30:31], v[26:27], -v[20:21]
	;; [unrolled: 1-line block ×3, first 2 shown]
	v_fma_f64 v[12:13], v[14:15], v[12:13], s[6:7]
	s_mov_b32 s6, 0x92376b7d
	s_mov_b32 s7, 0xbfc24924
	v_add_f64 v[32:33], v[26:27], -v[30:31]
	v_add_f64 v[18:19], v[24:25], -v[30:31]
	v_add_f64 v[24:25], v[22:23], v[10:11]
	v_fma_f64 v[12:13], v[14:15], v[12:13], s[6:7]
	s_mov_b32 s6, 0x999952cc
	s_mov_b32 s7, 0x3fc99999
	v_add_f64 v[20:21], v[20:21], -v[32:33]
	v_fma_f64 v[12:13], v[14:15], v[12:13], s[6:7]
	s_mov_b32 s6, 0x55555523
	s_mov_b32 s7, 0xbfd55555
	v_add_f64 v[18:19], v[18:19], v[20:21]
	v_add_f64 v[20:21], v[24:25], -v[22:23]
	v_fma_f64 v[12:13], v[14:15], v[12:13], s[6:7]
	s_mov_b32 s6, 0x54442d18
	s_mov_b32 s7, 0x3ff921fb
	v_add_f64 v[18:19], v[24:25], v[18:19]
	v_add_f64 v[10:11], v[10:11], -v[20:21]
	v_mul_f64 v[12:13], v[14:15], v[12:13]
	v_add_f64 v[14:15], v[24:25], -v[20:21]
	v_add_f64 v[24:25], v[26:27], v[18:19]
	v_fma_f64 v[8:9], v[8:9], v[12:13], v[8:9]
	v_add_f64 v[12:13], v[22:23], -v[14:15]
	v_add_f64 v[14:15], v[24:25], -v[26:27]
	v_add_f64 v[20:21], -v[8:9], s[6:7]
	v_add_f64 v[10:11], v[10:11], v[12:13]
	s_mov_b32 s7, 0x400921fb
	v_add_f64 v[12:13], v[18:19], -v[14:15]
	v_ashrrev_i32_e32 v14, 31, v1
	v_cndmask_b32_e32 v18, 0x54442d18, v0, vcc_lo
	v_cndmask_b32_e64 v9, v9, v21, s4
	v_cndmask_b32_e64 v8, v8, v20, s4
	v_and_b32_e32 v15, 0x54442d18, v14
	v_add_f64 v[10:11], v[10:11], v[12:13]
	v_add_f64 v[12:13], -v[8:9], s[6:7]
	v_cmp_eq_f64_e64 s6, 0, v[2:3]
	v_add_f64 v[0:1], v[24:25], v[10:11]
	v_mov_b32_e32 v10, 0x4002d97c
	v_cndmask_b32_e32 v8, v8, v12, vcc_lo
	v_cndmask_b32_e32 v9, v9, v13, vcc_lo
	v_and_b32_e32 v11, 0x400921fb, v14
	v_cndmask_b32_e32 v10, 0x3fe921fb, v10, vcc_lo
	v_cmp_ngt_f64_e32 vcc_lo, 0, v[16:17]
	v_cndmask_b32_e64 v8, v8, v15, s6
	v_cndmask_b32_e64 v9, v9, v11, s6
	v_bfi_b32 v10, 0x7fffffff, v10, v3
	v_cndmask_b32_e64 v0, v0, v16, s5
	v_cndmask_b32_e64 v1, v1, v17, s5
	v_cmp_nge_f64_e64 s5, 0, v[16:17]
	v_cndmask_b32_e32 v1, 0x7ff80000, v1, vcc_lo
	s_and_b32 vcc_lo, s9, s10
	v_cndmask_b32_e32 v15, v9, v10, vcc_lo
	v_cndmask_b32_e32 v14, v8, v18, vcc_lo
	v_cndmask_b32_e64 v12, 0, v0, s5
	v_cmp_neq_f64_e64 s5, 0, v[16:17]
	v_cndmask_b32_e64 v13, 0xfff00000, v1, s5
.LBB36_17:
	s_or_b32 exec_lo, exec_lo, s8
                                        ; implicit-def: $vgpr10_vgpr11
                                        ; implicit-def: $vgpr0_vgpr1
.LBB36_18:
	s_andn2_saveexec_b32 s8, s16
	s_cbranch_execz .LBB36_24
; %bb.19:
	s_mov_b32 s6, 0x6a3f9475
	s_mov_b32 s7, 0x20ca2fe7
                                        ; implicit-def: $vgpr12_vgpr13
                                        ; implicit-def: $vgpr14_vgpr15
	s_mov_b32 s5, exec_lo
	v_cmpx_ngt_f64_e32 s[6:7], v[10:11]
	s_xor_b32 s9, exec_lo, s5
	s_cbranch_execz .LBB36_21
; %bb.20:
	v_mul_f64 v[8:9], v[10:11], v[10:11]
	s_mov_b32 s7, 0x3fe55555
	s_mov_b32 s6, 0x55555555
	;; [unrolled: 1-line block ×6, first 2 shown]
	v_cmp_eq_f64_e64 s5, 0, v[2:3]
	v_add_f64 v[10:11], v[8:9], 1.0
	v_frexp_mant_f64_e32 v[12:13], v[10:11]
	v_frexp_exp_i32_f64_e32 v16, v[10:11]
	v_add_f64 v[14:15], v[10:11], -1.0
	v_cmp_gt_f64_e32 vcc_lo, s[6:7], v[12:13]
	s_mov_b32 s6, 0x55555780
	v_add_f64 v[12:13], v[14:15], -v[10:11]
	v_add_f64 v[14:15], v[8:9], -v[14:15]
	v_subrev_co_ci_u32_e64 v48, null, 0, v16, vcc_lo
	v_add_f64 v[12:13], v[12:13], 1.0
	v_sub_nc_u32_e32 v18, 0, v48
	v_ldexp_f64 v[10:11], v[10:11], v18
	v_add_f64 v[12:13], v[14:15], v[12:13]
	v_add_f64 v[16:17], v[10:11], 1.0
	v_add_f64 v[22:23], v[10:11], -1.0
	v_ldexp_f64 v[12:13], v[12:13], v18
	v_add_f64 v[14:15], v[16:17], -1.0
	v_add_f64 v[24:25], v[22:23], 1.0
	v_add_f64 v[14:15], v[10:11], -v[14:15]
	v_add_f64 v[10:11], v[10:11], -v[24:25]
	v_add_f64 v[14:15], v[12:13], v[14:15]
	v_add_f64 v[10:11], v[12:13], v[10:11]
	;; [unrolled: 1-line block ×4, first 2 shown]
	v_rcp_f64_e32 v[20:21], v[18:19]
	v_add_f64 v[16:17], v[16:17], -v[18:19]
	v_add_f64 v[22:23], v[22:23], -v[24:25]
	v_add_f64 v[14:15], v[14:15], v[16:17]
	v_fma_f64 v[26:27], -v[18:19], v[20:21], 1.0
	v_add_f64 v[10:11], v[10:11], v[22:23]
	v_fma_f64 v[20:21], v[26:27], v[20:21], v[20:21]
	v_fma_f64 v[12:13], -v[18:19], v[20:21], 1.0
	v_fma_f64 v[12:13], v[12:13], v[20:21], v[20:21]
	v_mul_f64 v[20:21], v[24:25], v[12:13]
	v_mul_f64 v[26:27], v[18:19], v[20:21]
	v_fma_f64 v[16:17], v[20:21], v[18:19], -v[26:27]
	v_fma_f64 v[16:17], v[20:21], v[14:15], v[16:17]
	v_add_f64 v[28:29], v[26:27], v[16:17]
	v_add_f64 v[30:31], v[24:25], -v[28:29]
	v_add_f64 v[22:23], v[28:29], -v[26:27]
	v_max_f64 v[26:27], |v[2:3]|, |v[2:3]|
	v_add_f64 v[24:25], v[24:25], -v[30:31]
	v_add_f64 v[16:17], v[22:23], -v[16:17]
	v_add_f64 v[24:25], v[24:25], -v[28:29]
	v_max_f64 v[28:29], |v[0:1]|, |v[0:1]|
	v_add_f64 v[10:11], v[10:11], v[24:25]
	v_max_f64 v[32:33], v[28:29], v[26:27]
	v_min_f64 v[26:27], v[28:29], v[26:27]
	v_add_f64 v[10:11], v[16:17], v[10:11]
	v_add_f64 v[16:17], v[30:31], v[10:11]
	v_mul_f64 v[22:23], v[12:13], v[16:17]
	v_add_f64 v[30:31], v[30:31], -v[16:17]
	v_mul_f64 v[24:25], v[18:19], v[22:23]
	v_add_f64 v[10:11], v[10:11], v[30:31]
	v_fma_f64 v[18:19], v[22:23], v[18:19], -v[24:25]
	v_fma_f64 v[14:15], v[22:23], v[14:15], v[18:19]
	v_div_scale_f64 v[18:19], null, v[32:33], v[32:33], v[26:27]
	v_add_f64 v[28:29], v[24:25], v[14:15]
	v_rcp_f64_e32 v[34:35], v[18:19]
	v_add_f64 v[36:37], v[16:17], -v[28:29]
	v_add_f64 v[24:25], v[28:29], -v[24:25]
	v_fma_f64 v[38:39], -v[18:19], v[34:35], 1.0
	v_add_f64 v[16:17], v[16:17], -v[36:37]
	v_add_f64 v[14:15], v[24:25], -v[14:15]
	v_fma_f64 v[34:35], v[34:35], v[38:39], v[34:35]
	v_add_f64 v[16:17], v[16:17], -v[28:29]
	v_fma_f64 v[28:29], -v[18:19], v[34:35], 1.0
	v_add_f64 v[10:11], v[10:11], v[16:17]
	v_div_scale_f64 v[16:17], vcc_lo, v[26:27], v[32:33], v[26:27]
	v_fma_f64 v[24:25], v[34:35], v[28:29], v[34:35]
	v_add_f64 v[28:29], v[20:21], v[22:23]
	v_add_f64 v[10:11], v[14:15], v[10:11]
	v_mul_f64 v[14:15], v[16:17], v[24:25]
	v_add_f64 v[20:21], v[28:29], -v[20:21]
	v_add_f64 v[10:11], v[36:37], v[10:11]
	v_fma_f64 v[16:17], -v[18:19], v[14:15], v[16:17]
	v_add_f64 v[18:19], v[22:23], -v[20:21]
	v_mul_f64 v[10:11], v[12:13], v[10:11]
	v_div_fmas_f64 v[12:13], v[16:17], v[24:25], v[14:15]
	v_cmp_gt_i32_e32 vcc_lo, 0, v1
	v_add_f64 v[10:11], v[18:19], v[10:11]
	v_div_fixup_f64 v[12:13], v[12:13], v[32:33], v[26:27]
	v_add_f64 v[14:15], v[28:29], v[10:11]
	v_mul_f64 v[16:17], v[12:13], v[12:13]
	v_mul_f64 v[18:19], v[14:15], v[14:15]
	v_fma_f64 v[20:21], v[16:17], s[12:13], s[10:11]
	s_mov_b32 s10, 0x6b47b09a
	s_mov_b32 s12, 0xbf559e2b
	;; [unrolled: 1-line block ×4, first 2 shown]
	v_fma_f64 v[22:23], v[18:19], s[12:13], s[10:11]
	s_mov_b32 s10, 0x69efb384
	s_mov_b32 s11, 0x3f4b2bb0
	v_mul_f64 v[24:25], v[14:15], v[18:19]
	v_fma_f64 v[20:21], v[16:17], v[20:21], s[10:11]
	s_mov_b32 s10, 0xd7f4df2e
	s_mov_b32 s11, 0x3fc7474d
	v_fma_f64 v[22:23], v[18:19], v[22:23], s[10:11]
	s_mov_b32 s10, 0xaf56de9b
	s_mov_b32 s11, 0xbf67952d
	;; [unrolled: 3-line block ×10, first 2 shown]
	v_ldexp_f64 v[22:23], v[14:15], 1
	v_fma_f64 v[20:21], v[16:17], v[20:21], s[6:7]
	s_mov_b32 s6, 0x5711927a
	s_mov_b32 s7, 0x3fa2c15b
	v_add_f64 v[14:15], v[14:15], -v[28:29]
	v_mul_f64 v[18:19], v[24:25], v[18:19]
	v_cvt_f64_i32_e32 v[24:25], v48
	v_fma_f64 v[20:21], v[16:17], v[20:21], s[6:7]
	s_mov_b32 s6, 0xe82d3ff0
	s_mov_b32 s7, 0xbfa59976
	v_add_f64 v[10:11], v[10:11], -v[14:15]
	v_add_f64 v[26:27], v[22:23], v[18:19]
	v_fma_f64 v[20:21], v[16:17], v[20:21], s[6:7]
	s_mov_b32 s6, 0xfefa39ef
	s_mov_b32 s7, 0x3fe62e42
	v_ldexp_f64 v[10:11], v[10:11], 1
	v_mul_f64 v[28:29], v[24:25], s[6:7]
	v_add_f64 v[14:15], v[26:27], -v[22:23]
	v_fma_f64 v[20:21], v[16:17], v[20:21], s[10:11]
	v_cmp_class_f64_e64 s10, v[0:1], 0x204
	v_fma_f64 v[22:23], v[24:25], s[6:7], -v[28:29]
	s_mov_b32 s6, 0x6a214619
	s_mov_b32 s7, 0xbfaae5ce
	v_add_f64 v[14:15], v[18:19], -v[14:15]
	v_fma_f64 v[18:19], v[16:17], v[20:21], s[6:7]
	s_mov_b32 s6, 0x3b39803f
	s_mov_b32 s7, 0x3c7abc9e
	v_fma_f64 v[20:21], v[24:25], s[6:7], v[22:23]
	s_mov_b32 s6, 0x8427b883
	s_mov_b32 s7, 0x3fae1bb4
	v_add_f64 v[10:11], v[10:11], v[14:15]
	v_fma_f64 v[14:15], v[16:17], v[18:19], s[6:7]
	s_mov_b32 s6, 0x8b207f05
	s_mov_b32 s7, 0xbfb110e4
	v_add_f64 v[18:19], v[28:29], v[20:21]
	v_add_f64 v[22:23], v[26:27], v[10:11]
	v_fma_f64 v[14:15], v[16:17], v[14:15], s[6:7]
	s_mov_b32 s6, 0x57b87036
	s_mov_b32 s7, 0x3fb3b136
	v_add_f64 v[28:29], v[18:19], -v[28:29]
	v_add_f64 v[24:25], v[18:19], v[22:23]
	v_add_f64 v[26:27], v[22:23], -v[26:27]
	v_fma_f64 v[14:15], v[16:17], v[14:15], s[6:7]
	s_mov_b32 s6, 0x19378e4f
	s_mov_b32 s7, 0xbfb745d1
	v_add_f64 v[20:21], v[20:21], -v[28:29]
	v_add_f64 v[30:31], v[24:25], -v[18:19]
	;; [unrolled: 1-line block ×3, first 2 shown]
	v_fma_f64 v[14:15], v[16:17], v[14:15], s[6:7]
	s_mov_b32 s6, 0x17e1913c
	s_mov_b32 s7, 0x3fbc71c7
	v_add_f64 v[32:33], v[24:25], -v[30:31]
	v_add_f64 v[22:23], v[22:23], -v[30:31]
	v_add_f64 v[26:27], v[20:21], v[10:11]
	v_fma_f64 v[14:15], v[16:17], v[14:15], s[6:7]
	s_mov_b32 s6, 0x92376b7d
	s_mov_b32 s7, 0xbfc24924
	v_add_f64 v[18:19], v[18:19], -v[32:33]
	v_fma_f64 v[14:15], v[16:17], v[14:15], s[6:7]
	s_mov_b32 s6, 0x999952cc
	s_mov_b32 s7, 0x3fc99999
	v_add_f64 v[18:19], v[22:23], v[18:19]
	v_add_f64 v[22:23], v[26:27], -v[20:21]
	v_fma_f64 v[14:15], v[16:17], v[14:15], s[6:7]
	s_mov_b32 s6, 0x55555523
	s_mov_b32 s7, 0xbfd55555
	v_add_f64 v[18:19], v[26:27], v[18:19]
	v_add_f64 v[26:27], v[26:27], -v[22:23]
	v_add_f64 v[10:11], v[10:11], -v[22:23]
	v_fma_f64 v[14:15], v[16:17], v[14:15], s[6:7]
	s_mov_b32 s6, 0x54442d18
	s_mov_b32 s7, 0x3ff921fb
	v_add_f64 v[28:29], v[24:25], v[18:19]
	v_mul_f64 v[14:15], v[16:17], v[14:15]
	v_add_f64 v[16:17], v[20:21], -v[26:27]
	v_add_f64 v[20:21], v[28:29], -v[24:25]
	v_fma_f64 v[12:13], v[12:13], v[14:15], v[12:13]
	v_add_f64 v[10:11], v[10:11], v[16:17]
	v_add_f64 v[14:15], v[18:19], -v[20:21]
	v_add_f64 v[16:17], -v[12:13], s[6:7]
	s_mov_b32 s7, 0x400921fb
	v_add_f64 v[10:11], v[10:11], v[14:15]
	v_cndmask_b32_e64 v13, v13, v17, s4
	v_cndmask_b32_e64 v12, v12, v16, s4
	v_ashrrev_i32_e32 v17, 31, v1
	v_mov_b32_e32 v16, 0x7f3321d2
	v_add_f64 v[14:15], -v[12:13], s[6:7]
	v_cmp_class_f64_e64 s7, v[2:3], 0x204
	v_cmp_neq_f64_e64 s6, 0x7ff00000, v[8:9]
	v_mov_b32_e32 v8, 0x4002d97c
	v_and_b32_e32 v18, 0x54442d18, v17
	v_and_b32_e32 v9, 0x400921fb, v17
	v_cndmask_b32_e32 v16, 0x54442d18, v16, vcc_lo
	v_cndmask_b32_e32 v8, 0x3fe921fb, v8, vcc_lo
	v_add_f64 v[10:11], v[28:29], v[10:11]
	v_bfi_b32 v8, 0x7fffffff, v8, v3
	v_cndmask_b32_e32 v12, v12, v14, vcc_lo
	v_mul_f64 v[0:1], v[10:11], 0.5
	v_cndmask_b32_e32 v10, v13, v15, vcc_lo
	v_cndmask_b32_e64 v11, v12, v18, s5
	s_and_b32 vcc_lo, s10, s7
	v_cndmask_b32_e64 v9, v10, v9, s5
	v_cndmask_b32_e32 v14, v11, v16, vcc_lo
                                        ; implicit-def: $vgpr10_vgpr11
	v_cndmask_b32_e32 v15, v9, v8, vcc_lo
	v_cndmask_b32_e64 v13, 0x7ff00000, v1, s6
	v_cndmask_b32_e64 v12, 0, v0, s6
                                        ; implicit-def: $vgpr0_vgpr1
.LBB36_21:
	s_andn2_saveexec_b32 s6, s9
	s_cbranch_execz .LBB36_23
; %bb.22:
	v_max_f64 v[8:9], |v[2:3]|, |v[2:3]|
	v_max_f64 v[12:13], |v[0:1]|, |v[0:1]|
	s_mov_b32 s10, 0xbd3237f4
	s_mov_b32 s12, 0xb5e68a13
	;; [unrolled: 1-line block ×4, first 2 shown]
	v_cmp_eq_f64_e64 s5, 0, v[2:3]
	v_cmp_class_f64_e64 s7, v[2:3], 0x204
	v_cmp_class_f64_e64 s9, v[0:1], 0x204
	v_mov_b32_e32 v0, 0x4002d97c
	v_max_f64 v[14:15], v[12:13], v[8:9]
	v_min_f64 v[8:9], v[12:13], v[8:9]
	v_div_scale_f64 v[12:13], null, v[14:15], v[14:15], v[8:9]
	v_div_scale_f64 v[20:21], vcc_lo, v[8:9], v[14:15], v[8:9]
	v_rcp_f64_e32 v[16:17], v[12:13]
	v_fma_f64 v[18:19], -v[12:13], v[16:17], 1.0
	v_fma_f64 v[16:17], v[16:17], v[18:19], v[16:17]
	v_fma_f64 v[18:19], -v[12:13], v[16:17], 1.0
	v_fma_f64 v[16:17], v[16:17], v[18:19], v[16:17]
	v_mul_f64 v[18:19], v[20:21], v[16:17]
	v_fma_f64 v[12:13], -v[12:13], v[18:19], v[20:21]
	v_div_fmas_f64 v[12:13], v[12:13], v[16:17], v[18:19]
	v_cmp_gt_i32_e32 vcc_lo, 0, v1
	v_ashrrev_i32_e32 v17, 31, v1
	v_cndmask_b32_e32 v0, 0x3fe921fb, v0, vcc_lo
	v_and_b32_e32 v19, 0x54442d18, v17
	v_and_b32_e32 v1, 0x400921fb, v17
	v_bfi_b32 v0, 0x7fffffff, v0, v3
	v_div_fixup_f64 v[8:9], v[12:13], v[14:15], v[8:9]
	v_mul_f64 v[12:13], v[8:9], v[8:9]
	v_fma_f64 v[14:15], v[12:13], s[12:13], s[10:11]
	s_mov_b32 s10, 0x69efb384
	s_mov_b32 s11, 0x3f4b2bb0
	v_fma_f64 v[14:15], v[12:13], v[14:15], s[10:11]
	s_mov_b32 s10, 0xaf56de9b
	s_mov_b32 s11, 0xbf67952d
	v_fma_f64 v[14:15], v[12:13], v[14:15], s[10:11]
	s_mov_b32 s10, 0xa595c56f
	s_mov_b32 s11, 0x3f7d6d43
	v_fma_f64 v[14:15], v[12:13], v[14:15], s[10:11]
	s_mov_b32 s10, 0xa57d9582
	s_mov_b32 s11, 0xbf8c6ea4
	v_fma_f64 v[14:15], v[12:13], v[14:15], s[10:11]
	s_mov_b32 s10, 0x5f08b19f
	s_mov_b32 s11, 0x3f967e29
	v_fma_f64 v[14:15], v[12:13], v[14:15], s[10:11]
	s_mov_b32 s10, 0xfc27006a
	s_mov_b32 s11, 0xbf9e9ae6
	v_fma_f64 v[14:15], v[12:13], v[14:15], s[10:11]
	s_mov_b32 s10, 0x5711927a
	s_mov_b32 s11, 0x3fa2c15b
	v_fma_f64 v[14:15], v[12:13], v[14:15], s[10:11]
	s_mov_b32 s10, 0xe82d3ff0
	s_mov_b32 s11, 0xbfa59976
	v_fma_f64 v[14:15], v[12:13], v[14:15], s[10:11]
	s_mov_b32 s10, 0x6ef28734
	s_mov_b32 s11, 0x3fa82d5d
	v_fma_f64 v[14:15], v[12:13], v[14:15], s[10:11]
	s_mov_b32 s10, 0x6a214619
	s_mov_b32 s11, 0xbfaae5ce
	v_fma_f64 v[14:15], v[12:13], v[14:15], s[10:11]
	s_mov_b32 s10, 0x8427b883
	s_mov_b32 s11, 0x3fae1bb4
	v_fma_f64 v[14:15], v[12:13], v[14:15], s[10:11]
	s_mov_b32 s10, 0x8b207f05
	s_mov_b32 s11, 0xbfb110e4
	v_fma_f64 v[14:15], v[12:13], v[14:15], s[10:11]
	s_mov_b32 s10, 0x57b87036
	s_mov_b32 s11, 0x3fb3b136
	v_fma_f64 v[14:15], v[12:13], v[14:15], s[10:11]
	s_mov_b32 s10, 0x19378e4f
	s_mov_b32 s11, 0xbfb745d1
	v_fma_f64 v[14:15], v[12:13], v[14:15], s[10:11]
	s_mov_b32 s10, 0x17e1913c
	s_mov_b32 s11, 0x3fbc71c7
	v_fma_f64 v[14:15], v[12:13], v[14:15], s[10:11]
	s_mov_b32 s10, 0x92376b7d
	s_mov_b32 s11, 0xbfc24924
	v_fma_f64 v[14:15], v[12:13], v[14:15], s[10:11]
	s_mov_b32 s10, 0x999952cc
	s_mov_b32 s11, 0x3fc99999
	v_fma_f64 v[14:15], v[12:13], v[14:15], s[10:11]
	s_mov_b32 s10, 0x55555523
	s_mov_b32 s11, 0xbfd55555
	v_fma_f64 v[14:15], v[12:13], v[14:15], s[10:11]
	s_mov_b32 s10, 0x54442d18
	s_mov_b32 s11, 0x3ff921fb
	v_mul_f64 v[12:13], v[12:13], v[14:15]
	v_mul_f64 v[15:16], v[10:11], 0.5
	v_fma_f64 v[8:9], v[8:9], v[12:13], v[8:9]
	v_add_f64 v[12:13], -v[8:9], s[10:11]
	s_mov_b32 s11, 0x400921fb
	v_cndmask_b32_e64 v9, v9, v13, s4
	v_cndmask_b32_e64 v8, v8, v12, s4
	v_mov_b32_e32 v12, 0x7f3321d2
	v_add_f64 v[13:14], -v[8:9], s[10:11]
	v_cndmask_b32_e32 v18, 0x54442d18, v12, vcc_lo
	v_cndmask_b32_e32 v8, v8, v13, vcc_lo
	v_mul_f64 v[12:13], v[10:11], v[15:16]
	v_cndmask_b32_e32 v9, v9, v14, vcc_lo
	s_and_b32 vcc_lo, s9, s7
	v_cndmask_b32_e64 v8, v8, v19, s5
	v_cndmask_b32_e64 v1, v9, v1, s5
	v_cndmask_b32_e32 v14, v8, v18, vcc_lo
	v_cndmask_b32_e32 v15, v1, v0, vcc_lo
.LBB36_23:
	s_or_b32 exec_lo, exec_lo, s6
.LBB36_24:
	s_or_b32 exec_lo, exec_lo, s8
                                        ; implicit-def: $vgpr0_vgpr1
.LBB36_25:
	s_andn2_saveexec_b32 s8, s15
	s_cbranch_execz .LBB36_27
; %bb.26:
	s_mov_b32 s6, 0x8b145769
	s_mov_b32 s7, 0x4005bf0a
	;; [unrolled: 1-line block ×3, first 2 shown]
	v_div_scale_f64 v[8:9], null, s[6:7], s[6:7], v[0:1]
	v_div_scale_f64 v[10:11], null, s[6:7], s[6:7], v[2:3]
	v_div_scale_f64 v[20:21], vcc_lo, v[0:1], s[6:7], v[0:1]
	s_mov_b32 s16, 0xb5e68a13
	s_mov_b32 s13, 0xbf23e260
	;; [unrolled: 1-line block ×5, first 2 shown]
	v_rcp_f64_e32 v[12:13], v[8:9]
	v_rcp_f64_e32 v[14:15], v[10:11]
	v_fma_f64 v[16:17], -v[8:9], v[12:13], 1.0
	v_fma_f64 v[18:19], -v[10:11], v[14:15], 1.0
	v_fma_f64 v[12:13], v[12:13], v[16:17], v[12:13]
	v_fma_f64 v[14:15], v[14:15], v[18:19], v[14:15]
	v_fma_f64 v[16:17], -v[8:9], v[12:13], 1.0
	v_fma_f64 v[18:19], -v[10:11], v[14:15], 1.0
	v_fma_f64 v[12:13], v[12:13], v[16:17], v[12:13]
	v_div_scale_f64 v[16:17], s5, v[2:3], s[6:7], v[2:3]
	v_fma_f64 v[14:15], v[14:15], v[18:19], v[14:15]
	v_mul_f64 v[18:19], v[20:21], v[12:13]
	v_mul_f64 v[22:23], v[16:17], v[14:15]
	v_fma_f64 v[8:9], -v[8:9], v[18:19], v[20:21]
	v_fma_f64 v[10:11], -v[10:11], v[22:23], v[16:17]
	v_div_fmas_f64 v[8:9], v[8:9], v[12:13], v[18:19]
	s_mov_b32 vcc_lo, s5
	v_div_fmas_f64 v[10:11], v[10:11], v[14:15], v[22:23]
	v_div_fixup_f64 v[8:9], v[8:9], s[6:7], v[0:1]
	v_div_fixup_f64 v[10:11], v[10:11], s[6:7], v[2:3]
	s_mov_b32 s7, 0x3fe55555
	v_cmp_class_f64_e64 s5, v[8:9], 0x204
	v_max_f64 v[12:13], |v[8:9]|, |v[10:11]|
	v_cmp_class_f64_e64 s6, v[10:11], 0x204
	v_frexp_exp_i32_f64_e32 v20, v[12:13]
	s_or_b32 s5, s5, s6
	s_mov_b32 s6, 0x55555555
	v_sub_nc_u32_e32 v14, 0, v20
	v_ldexp_f64 v[12:13], |v[10:11]|, v14
	v_ldexp_f64 v[14:15], |v[8:9]|, v14
	v_mul_f64 v[12:13], v[12:13], v[12:13]
	v_fma_f64 v[12:13], v[14:15], v[14:15], v[12:13]
	v_rsq_f64_e32 v[14:15], v[12:13]
	v_cmp_eq_f64_e32 vcc_lo, 0, v[12:13]
	v_mul_f64 v[16:17], v[12:13], v[14:15]
	v_mul_f64 v[14:15], v[14:15], 0.5
	v_fma_f64 v[18:19], -v[14:15], v[16:17], 0.5
	v_fma_f64 v[16:17], v[16:17], v[18:19], v[16:17]
	v_fma_f64 v[14:15], v[14:15], v[18:19], v[14:15]
	v_fma_f64 v[18:19], -v[16:17], v[16:17], v[12:13]
	v_fma_f64 v[14:15], v[18:19], v[14:15], v[16:17]
	v_cndmask_b32_e32 v13, v15, v13, vcc_lo
	v_cndmask_b32_e32 v12, v14, v12, vcc_lo
	v_cmp_o_f64_e32 vcc_lo, v[8:9], v[10:11]
	v_ldexp_f64 v[12:13], v[12:13], v20
	v_max_f64 v[20:21], |v[0:1]|, |v[0:1]|
	v_cndmask_b32_e32 v8, 0, v12, vcc_lo
	v_cndmask_b32_e32 v9, 0x7ff80000, v13, vcc_lo
	v_cndmask_b32_e64 v8, v8, 0, s5
	v_cndmask_b32_e64 v9, v9, 0x7ff00000, s5
	v_frexp_mant_f64_e32 v[10:11], v[8:9]
	v_cmp_gt_f64_e64 s5, s[6:7], v[10:11]
	s_mov_b32 s6, 0x55555780
	v_cndmask_b32_e64 v12, 0, 1, s5
	v_ldexp_f64 v[10:11], v[10:11], v12
	v_add_f64 v[12:13], v[10:11], 1.0
	v_add_f64 v[18:19], v[10:11], -1.0
	v_rcp_f64_e32 v[14:15], v[12:13]
	v_fma_f64 v[16:17], -v[12:13], v[14:15], 1.0
	v_fma_f64 v[14:15], v[16:17], v[14:15], v[14:15]
	v_fma_f64 v[16:17], -v[12:13], v[14:15], 1.0
	v_fma_f64 v[14:15], v[16:17], v[14:15], v[14:15]
	v_max_f64 v[16:17], |v[2:3]|, |v[2:3]|
	v_mul_f64 v[22:23], v[18:19], v[14:15]
	v_max_f64 v[24:25], v[20:21], v[16:17]
	v_min_f64 v[16:17], v[20:21], v[16:17]
	v_add_f64 v[20:21], v[12:13], -1.0
	v_mul_f64 v[26:27], v[12:13], v[22:23]
	v_div_scale_f64 v[28:29], null, v[24:25], v[24:25], v[16:17]
	v_add_f64 v[10:11], v[10:11], -v[20:21]
	v_div_scale_f64 v[34:35], vcc_lo, v[16:17], v[24:25], v[16:17]
	v_fma_f64 v[12:13], v[22:23], v[12:13], -v[26:27]
	v_rcp_f64_e32 v[20:21], v[28:29]
	v_fma_f64 v[10:11], v[22:23], v[10:11], v[12:13]
	v_fma_f64 v[12:13], -v[28:29], v[20:21], 1.0
	v_add_f64 v[30:31], v[26:27], v[10:11]
	v_fma_f64 v[12:13], v[20:21], v[12:13], v[20:21]
	v_add_f64 v[20:21], v[18:19], -v[30:31]
	v_add_f64 v[26:27], v[30:31], -v[26:27]
	v_fma_f64 v[32:33], -v[28:29], v[12:13], 1.0
	v_add_f64 v[18:19], v[18:19], -v[20:21]
	v_add_f64 v[10:11], v[26:27], -v[10:11]
	v_fma_f64 v[12:13], v[12:13], v[32:33], v[12:13]
	v_add_f64 v[18:19], v[18:19], -v[30:31]
	v_mul_f64 v[26:27], v[34:35], v[12:13]
	v_add_f64 v[10:11], v[10:11], v[18:19]
	v_fma_f64 v[18:19], -v[28:29], v[26:27], v[34:35]
	v_frexp_exp_i32_f64_e32 v28, v[8:9]
	v_add_f64 v[10:11], v[20:21], v[10:11]
	v_div_fmas_f64 v[12:13], v[18:19], v[12:13], v[26:27]
	v_cmp_class_f64_e64 vcc_lo, v[8:9], 0x204
	v_mul_f64 v[10:11], v[14:15], v[10:11]
	v_div_fixup_f64 v[12:13], v[12:13], v[24:25], v[16:17]
	v_add_f64 v[14:15], v[22:23], v[10:11]
	v_mul_f64 v[16:17], v[12:13], v[12:13]
	v_mul_f64 v[18:19], v[14:15], v[14:15]
	v_fma_f64 v[20:21], v[16:17], s[16:17], s[12:13]
	s_mov_b32 s12, 0xbf559e2b
	s_mov_b32 s13, 0x3fc3ab76
	v_fma_f64 v[24:25], v[18:19], s[12:13], s[10:11]
	s_mov_b32 s10, 0x69efb384
	s_mov_b32 s11, 0x3f4b2bb0
	v_mul_f64 v[26:27], v[14:15], v[18:19]
	v_fma_f64 v[20:21], v[16:17], v[20:21], s[10:11]
	s_mov_b32 s10, 0xd7f4df2e
	s_mov_b32 s11, 0x3fc7474d
	v_fma_f64 v[24:25], v[18:19], v[24:25], s[10:11]
	s_mov_b32 s10, 0xaf56de9b
	s_mov_b32 s11, 0xbf67952d
	;; [unrolled: 3-line block ×10, first 2 shown]
	v_ldexp_f64 v[24:25], v[14:15], 1
	v_fma_f64 v[20:21], v[16:17], v[20:21], s[6:7]
	s_mov_b32 s6, 0x5711927a
	s_mov_b32 s7, 0x3fa2c15b
	v_add_f64 v[14:15], v[14:15], -v[22:23]
	v_mul_f64 v[18:19], v[26:27], v[18:19]
	v_subrev_co_ci_u32_e64 v26, null, 0, v28, s5
	v_cmp_class_f64_e64 s5, v[2:3], 0x204
	v_fma_f64 v[20:21], v[16:17], v[20:21], s[6:7]
	s_mov_b32 s6, 0xfefa39ef
	v_cvt_f64_i32_e32 v[26:27], v26
	s_mov_b32 s7, 0x3fe62e42
	v_add_f64 v[10:11], v[10:11], -v[14:15]
	v_add_f64 v[22:23], v[24:25], v[18:19]
	v_fma_f64 v[20:21], v[16:17], v[20:21], s[10:11]
	s_mov_b32 s10, 0x6ef28734
	v_mul_f64 v[28:29], v[26:27], s[6:7]
	s_mov_b32 s11, 0x3fa82d5d
	v_ldexp_f64 v[10:11], v[10:11], 1
	v_add_f64 v[14:15], v[22:23], -v[24:25]
	v_fma_f64 v[20:21], v[16:17], v[20:21], s[10:11]
	s_mov_b32 s10, 0x3b39803f
	v_fma_f64 v[24:25], v[26:27], s[6:7], -v[28:29]
	s_mov_b32 s6, 0x6a214619
	s_mov_b32 s7, 0xbfaae5ce
	;; [unrolled: 1-line block ×3, first 2 shown]
	v_add_f64 v[14:15], v[18:19], -v[14:15]
	v_fma_f64 v[18:19], v[16:17], v[20:21], s[6:7]
	s_mov_b32 s6, 0x8427b883
	v_fma_f64 v[20:21], v[26:27], s[10:11], v[24:25]
	s_mov_b32 s7, 0x3fae1bb4
	v_add_f64 v[10:11], v[10:11], v[14:15]
	v_fma_f64 v[14:15], v[16:17], v[18:19], s[6:7]
	s_mov_b32 s6, 0x8b207f05
	v_add_f64 v[18:19], v[28:29], v[20:21]
	s_mov_b32 s7, 0xbfb110e4
	v_add_f64 v[24:25], v[22:23], v[10:11]
	v_fma_f64 v[14:15], v[16:17], v[14:15], s[6:7]
	s_mov_b32 s6, 0x57b87036
	s_mov_b32 s7, 0x3fb3b136
	v_add_f64 v[28:29], v[18:19], -v[28:29]
	v_add_f64 v[26:27], v[18:19], v[24:25]
	v_add_f64 v[22:23], v[24:25], -v[22:23]
	v_fma_f64 v[14:15], v[16:17], v[14:15], s[6:7]
	s_mov_b32 s6, 0x19378e4f
	s_mov_b32 s7, 0xbfb745d1
	v_add_f64 v[20:21], v[20:21], -v[28:29]
	v_add_f64 v[30:31], v[26:27], -v[18:19]
	;; [unrolled: 1-line block ×3, first 2 shown]
	v_fma_f64 v[14:15], v[16:17], v[14:15], s[6:7]
	s_mov_b32 s6, 0x17e1913c
	s_mov_b32 s7, 0x3fbc71c7
	v_add_f64 v[32:33], v[26:27], -v[30:31]
	v_add_f64 v[22:23], v[24:25], -v[30:31]
	v_add_f64 v[24:25], v[20:21], v[10:11]
	v_fma_f64 v[14:15], v[16:17], v[14:15], s[6:7]
	s_mov_b32 s6, 0x92376b7d
	s_mov_b32 s7, 0xbfc24924
	v_add_f64 v[18:19], v[18:19], -v[32:33]
	v_fma_f64 v[14:15], v[16:17], v[14:15], s[6:7]
	s_mov_b32 s6, 0x999952cc
	s_mov_b32 s7, 0x3fc99999
	v_add_f64 v[18:19], v[22:23], v[18:19]
	v_add_f64 v[22:23], v[24:25], -v[20:21]
	v_fma_f64 v[14:15], v[16:17], v[14:15], s[6:7]
	s_mov_b32 s6, 0x55555523
	s_mov_b32 s7, 0xbfd55555
	v_add_f64 v[18:19], v[24:25], v[18:19]
	v_add_f64 v[24:25], v[24:25], -v[22:23]
	v_add_f64 v[10:11], v[10:11], -v[22:23]
	v_fma_f64 v[14:15], v[16:17], v[14:15], s[6:7]
	s_mov_b32 s6, 0x54442d18
	s_mov_b32 s7, 0x3ff921fb
	v_add_f64 v[28:29], v[26:27], v[18:19]
	v_mul_f64 v[14:15], v[16:17], v[14:15]
	v_add_f64 v[16:17], v[20:21], -v[24:25]
	v_add_f64 v[20:21], v[28:29], -v[26:27]
	v_fma_f64 v[12:13], v[12:13], v[14:15], v[12:13]
	v_add_f64 v[10:11], v[10:11], v[16:17]
	v_add_f64 v[14:15], v[18:19], -v[20:21]
	v_add_f64 v[16:17], -v[12:13], s[6:7]
	s_mov_b32 s7, 0x400921fb
	v_add_f64 v[10:11], v[10:11], v[14:15]
	v_cndmask_b32_e64 v13, v13, v17, s4
	v_cndmask_b32_e64 v12, v12, v16, s4
	v_mov_b32_e32 v16, 0x7f3321d2
	v_cmp_gt_i32_e64 s4, 0, v1
	v_ashrrev_i32_e32 v17, 31, v1
	v_add_f64 v[14:15], -v[12:13], s[6:7]
	v_cmp_class_f64_e64 s6, v[0:1], 0x204
	v_mov_b32_e32 v0, 0x4002d97c
	v_cndmask_b32_e64 v16, 0x54442d18, v16, s4
	v_and_b32_e32 v18, 0x54442d18, v17
	v_and_b32_e32 v1, 0x400921fb, v17
	v_cndmask_b32_e64 v0, 0x3fe921fb, v0, s4
	v_add_f64 v[10:11], v[28:29], v[10:11]
	v_bfi_b32 v0, 0x7fffffff, v0, v3
	v_cndmask_b32_e64 v12, v12, v14, s4
	v_cndmask_b32_e64 v13, v13, v15, s4
	v_cmp_nge_f64_e64 s4, 0, v[8:9]
	v_cndmask_b32_e32 v11, v11, v9, vcc_lo
	v_cndmask_b32_e32 v10, v10, v8, vcc_lo
	v_cmp_eq_f64_e32 vcc_lo, 0, v[2:3]
	v_add_f64 v[10:11], v[10:11], 1.0
	v_cndmask_b32_e32 v14, v12, v18, vcc_lo
	v_cndmask_b32_e32 v1, v13, v1, vcc_lo
	v_cmp_ngt_f64_e32 vcc_lo, 0, v[8:9]
	v_cndmask_b32_e64 v12, 0, v10, s4
	v_cmp_neq_f64_e64 s4, 0, v[8:9]
	v_cndmask_b32_e32 v11, 0x7ff80000, v11, vcc_lo
	s_and_b32 vcc_lo, s6, s5
	v_cndmask_b32_e32 v15, v1, v0, vcc_lo
	v_cndmask_b32_e32 v14, v14, v16, vcc_lo
	v_cndmask_b32_e64 v13, 0xfff00000, v11, s4
.LBB36_27:
	s_or_b32 exec_lo, exec_lo, s8
                                        ; implicit-def: $vgpr0_vgpr1
.LBB36_28:
	s_andn2_saveexec_b32 s4, s14
	s_cbranch_execz .LBB36_34
; %bb.29:
	v_cmp_ngt_f64_e64 s5, 0x20000000, |v[0:1]|
	v_cmp_ngt_f64_e64 s6, 0x20000000, |v[2:3]|
                                        ; implicit-def: $vgpr8_vgpr9
	s_or_b32 s5, s5, s6
	s_and_saveexec_b32 s6, s5
	s_xor_b32 s5, exec_lo, s6
	s_cbranch_execz .LBB36_31
; %bb.30:
	v_mul_f64 v[8:9], v[2:3], v[2:3]
	v_fma_f64 v[8:9], v[0:1], v[0:1], v[8:9]
                                        ; implicit-def: $vgpr0_vgpr1
.LBB36_31:
	s_andn2_saveexec_b32 s5, s5
	s_cbranch_execz .LBB36_33
; %bb.32:
	v_mul_f64 v[8:9], v[2:3], 4.0
	v_mul_f64 v[0:1], v[0:1], 4.0
	v_mul_f64 v[8:9], v[8:9], v[8:9]
	v_fma_f64 v[0:1], v[0:1], v[0:1], v[8:9]
	v_ldexp_f64 v[8:9], v[0:1], -4
.LBB36_33:
	s_or_b32 exec_lo, exec_lo, s5
	v_frexp_mant_f64_e32 v[0:1], v[8:9]
	s_mov_b32 s7, 0x3fe55555
	s_mov_b32 s6, 0x55555555
	;; [unrolled: 1-line block ×6, first 2 shown]
	v_cmp_gt_f64_e32 vcc_lo, s[6:7], v[0:1]
	s_mov_b32 s6, 0x55555780
	v_cndmask_b32_e64 v2, 0, 1, vcc_lo
	v_ldexp_f64 v[0:1], v[0:1], v2
	v_frexp_exp_i32_f64_e32 v2, v[8:9]
	v_add_f64 v[10:11], v[0:1], 1.0
	v_add_f64 v[16:17], v[0:1], -1.0
	v_subrev_co_ci_u32_e64 v2, null, 0, v2, vcc_lo
	v_cmp_class_f64_e64 vcc_lo, v[8:9], 0x204
	v_rcp_f64_e32 v[12:13], v[10:11]
	v_add_f64 v[18:19], v[10:11], -1.0
	v_add_f64 v[0:1], v[0:1], -v[18:19]
	v_fma_f64 v[14:15], -v[10:11], v[12:13], 1.0
	v_fma_f64 v[12:13], v[14:15], v[12:13], v[12:13]
	v_fma_f64 v[14:15], -v[10:11], v[12:13], 1.0
	v_fma_f64 v[12:13], v[14:15], v[12:13], v[12:13]
	v_mul_f64 v[14:15], v[16:17], v[12:13]
	v_mul_f64 v[20:21], v[10:11], v[14:15]
	v_fma_f64 v[10:11], v[14:15], v[10:11], -v[20:21]
	v_fma_f64 v[0:1], v[14:15], v[0:1], v[10:11]
	v_add_f64 v[10:11], v[20:21], v[0:1]
	v_add_f64 v[18:19], v[16:17], -v[10:11]
	v_add_f64 v[20:21], v[10:11], -v[20:21]
	;; [unrolled: 1-line block ×5, first 2 shown]
	v_add_f64 v[0:1], v[0:1], v[10:11]
	v_add_f64 v[0:1], v[18:19], v[0:1]
	v_mul_f64 v[0:1], v[12:13], v[0:1]
	v_add_f64 v[10:11], v[14:15], v[0:1]
	v_mul_f64 v[12:13], v[10:11], v[10:11]
	v_fma_f64 v[16:17], v[12:13], s[10:11], s[8:9]
	s_mov_b32 s8, 0xd7f4df2e
	s_mov_b32 s9, 0x3fc7474d
	v_mul_f64 v[18:19], v[10:11], v[12:13]
	v_fma_f64 v[16:17], v[12:13], v[16:17], s[8:9]
	s_mov_b32 s8, 0x16291751
	s_mov_b32 s9, 0x3fcc71c0
	v_fma_f64 v[16:17], v[12:13], v[16:17], s[8:9]
	s_mov_b32 s8, 0x9b27acf1
	s_mov_b32 s9, 0x3fd24924
	;; [unrolled: 3-line block ×3, first 2 shown]
	v_fma_f64 v[16:17], v[12:13], v[16:17], s[8:9]
	v_fma_f64 v[12:13], v[12:13], v[16:17], s[6:7]
	v_ldexp_f64 v[16:17], v[10:11], 1
	v_add_f64 v[10:11], v[10:11], -v[14:15]
	s_mov_b32 s6, 0xfefa39ef
	s_mov_b32 s7, 0x3fe62e42
	v_mul_f64 v[12:13], v[18:19], v[12:13]
	v_cvt_f64_i32_e32 v[18:19], v2
	v_add_f64 v[0:1], v[0:1], -v[10:11]
	v_add_f64 v[14:15], v[16:17], v[12:13]
	v_mul_f64 v[20:21], v[18:19], s[6:7]
	v_ldexp_f64 v[0:1], v[0:1], 1
	v_add_f64 v[10:11], v[14:15], -v[16:17]
	v_fma_f64 v[16:17], v[18:19], s[6:7], -v[20:21]
	s_mov_b32 s6, 0x3b39803f
	s_mov_b32 s7, 0x3c7abc9e
	v_add_f64 v[10:11], v[12:13], -v[10:11]
	v_fma_f64 v[12:13], v[18:19], s[6:7], v[16:17]
	v_add_f64 v[0:1], v[0:1], v[10:11]
	v_add_f64 v[10:11], v[20:21], v[12:13]
	;; [unrolled: 1-line block ×3, first 2 shown]
	v_add_f64 v[20:21], v[10:11], -v[20:21]
	v_add_f64 v[18:19], v[10:11], v[16:17]
	v_add_f64 v[14:15], v[16:17], -v[14:15]
	v_add_f64 v[12:13], v[12:13], -v[20:21]
	;; [unrolled: 1-line block ×6, first 2 shown]
	v_add_f64 v[16:17], v[12:13], v[0:1]
	v_add_f64 v[10:11], v[10:11], -v[24:25]
	v_add_f64 v[10:11], v[14:15], v[10:11]
	v_add_f64 v[14:15], v[16:17], -v[12:13]
	;; [unrolled: 2-line block ×3, first 2 shown]
	v_add_f64 v[0:1], v[0:1], -v[14:15]
	v_add_f64 v[20:21], v[18:19], v[10:11]
	v_add_f64 v[12:13], v[12:13], -v[16:17]
	v_add_f64 v[14:15], v[20:21], -v[18:19]
	v_add_f64 v[0:1], v[0:1], v[12:13]
	v_add_f64 v[10:11], v[10:11], -v[14:15]
	v_mov_b32_e32 v14, 0
	v_mov_b32_e32 v15, 0x7ff80000
	v_add_f64 v[0:1], v[0:1], v[10:11]
	v_add_f64 v[0:1], v[20:21], v[0:1]
	v_cndmask_b32_e32 v0, v0, v8, vcc_lo
	v_cndmask_b32_e32 v1, v1, v9, vcc_lo
	v_cmp_ngt_f64_e32 vcc_lo, 0, v[8:9]
	v_cndmask_b32_e32 v1, 0x7ff80000, v1, vcc_lo
	v_cmp_nge_f64_e32 vcc_lo, 0, v[8:9]
	v_cndmask_b32_e32 v12, 0, v0, vcc_lo
	v_cmp_neq_f64_e32 vcc_lo, 0, v[8:9]
	v_cndmask_b32_e32 v13, 0xfff00000, v1, vcc_lo
.LBB36_34:
	s_or_b32 exec_lo, exec_lo, s4
	v_mul_f64 v[0:1], v[6:7], v[12:13]
	v_bfi_b32 v15, 0x7fffffff, v15, v3
	v_mul_f64 v[6:7], v[6:7], v[14:15]
	v_fma_f64 v[2:3], v[4:5], v[14:15], v[0:1]
	v_fma_f64 v[4:5], v[4:5], v[12:13], -v[6:7]
	v_and_b32_e32 v18, 0x7fffffff, v3
	v_or_b32_e32 v0, v18, v2
	v_cmp_ne_u32_e32 vcc_lo, 0, v0
                                        ; implicit-def: $vgpr0_vgpr1
	s_and_saveexec_b32 s4, vcc_lo
	s_xor_b32 s8, exec_lo, s4
	s_cbranch_execz .LBB36_40
; %bb.35:
	v_and_b32_e32 v6, 0x7fffffff, v5
	v_or_b32_e32 v0, v6, v4
	v_cmp_ne_u32_e32 vcc_lo, 0, v0
                                        ; implicit-def: $vgpr0_vgpr1
	s_and_saveexec_b32 s4, vcc_lo
	s_xor_b32 s9, exec_lo, s4
	s_cbranch_execz .LBB36_67
; %bb.36:
                                        ; implicit-def: $vgpr0_vgpr1
	s_mov_b32 s4, exec_lo
	v_cmpx_gt_u32_e32 0x7ff00000, v18
	s_xor_b32 s10, exec_lo, s4
	s_cbranch_execz .LBB36_60
; %bb.37:
	v_add_nc_u32_e32 v0, 0xbf79d1be, v5
	v_cmp_lt_u32_e32 vcc_lo, 0x108aa2, v0
                                        ; implicit-def: $vgpr0_vgpr1
	s_and_saveexec_b32 s4, vcc_lo
	s_xor_b32 s11, exec_lo, s4
	s_cbranch_execz .LBB36_49
; %bb.38:
	v_cmp_ngt_f64_e64 s4, 0x41d00000, |v[2:3]|
                                        ; implicit-def: $vgpr12
                                        ; implicit-def: $vgpr0_vgpr1
                                        ; implicit-def: $vgpr6_vgpr7
	s_and_saveexec_b32 s5, s4
	s_xor_b32 s5, exec_lo, s5
	s_cbranch_execz .LBB36_42
; %bb.39:
	v_ldexp_f64 v[0:1], |v[2:3]|, 0xffffff80
	v_cmp_le_f64_e64 vcc_lo, 0x7b000000, |v[2:3]|
	v_trig_preop_f64 v[6:7], |v[2:3]|, 0
	v_trig_preop_f64 v[8:9], |v[2:3]|, 1
	v_trig_preop_f64 v[19:20], |v[2:3]|, 2
	v_mov_b32_e32 v27, 0
	s_mov_b32 s6, 0x54442d18
	s_mov_b32 s7, 0x3ff921fb
	;; [unrolled: 1-line block ×4, first 2 shown]
	v_cndmask_b32_e32 v1, v18, v1, vcc_lo
	v_cndmask_b32_e32 v0, v2, v0, vcc_lo
	v_mul_f64 v[10:11], v[6:7], v[0:1]
	v_mul_f64 v[12:13], v[8:9], v[0:1]
	;; [unrolled: 1-line block ×3, first 2 shown]
	v_fma_f64 v[6:7], v[6:7], v[0:1], -v[10:11]
	v_fma_f64 v[8:9], v[8:9], v[0:1], -v[12:13]
	;; [unrolled: 1-line block ×3, first 2 shown]
	v_add_f64 v[14:15], v[12:13], v[6:7]
	v_add_f64 v[16:17], v[14:15], -v[12:13]
	v_add_f64 v[23:24], v[10:11], v[14:15]
	v_add_f64 v[21:22], v[14:15], -v[16:17]
	v_add_f64 v[6:7], v[6:7], -v[16:17]
	v_ldexp_f64 v[16:17], v[23:24], -2
	v_add_f64 v[10:11], v[23:24], -v[10:11]
	v_add_f64 v[12:13], v[12:13], -v[21:22]
	v_add_f64 v[21:22], v[25:26], v[8:9]
	v_cmp_neq_f64_e64 vcc_lo, 0x7ff00000, |v[16:17]|
	v_add_f64 v[10:11], v[14:15], -v[10:11]
	v_add_f64 v[6:7], v[6:7], v[12:13]
	v_fract_f64_e32 v[12:13], v[16:17]
	v_add_f64 v[14:15], v[21:22], v[6:7]
	v_ldexp_f64 v[12:13], v[12:13], 2
	v_add_f64 v[16:17], v[10:11], v[14:15]
	v_cndmask_b32_e32 v13, 0, v13, vcc_lo
	v_cndmask_b32_e32 v12, 0, v12, vcc_lo
	v_add_f64 v[23:24], v[16:17], v[12:13]
	v_add_f64 v[10:11], v[16:17], -v[10:11]
	v_cmp_gt_f64_e32 vcc_lo, 0, v[23:24]
	v_add_f64 v[23:24], v[21:22], -v[25:26]
	v_add_f64 v[10:11], v[14:15], -v[10:11]
	v_cndmask_b32_e64 v28, 0, 0x40100000, vcc_lo
	v_add_f64 v[32:33], v[21:22], -v[23:24]
	v_add_f64 v[8:9], v[8:9], -v[23:24]
	v_add_f64 v[12:13], v[12:13], v[27:28]
	v_add_f64 v[28:29], v[14:15], -v[21:22]
	v_add_f64 v[23:24], v[25:26], -v[32:33]
	v_add_f64 v[30:31], v[16:17], v[12:13]
	;; [unrolled: 3-line block ×3, first 2 shown]
	v_cvt_i32_f64_e32 v30, v[30:31]
	v_add_f64 v[21:22], v[21:22], -v[34:35]
	v_cvt_f64_i32_e32 v[28:29], v30
	v_add_f64 v[6:7], v[6:7], v[21:22]
	v_add_f64 v[12:13], v[12:13], -v[28:29]
	v_add_f64 v[6:7], v[8:9], v[6:7]
	v_add_f64 v[8:9], v[16:17], v[12:13]
	;; [unrolled: 1-line block ×3, first 2 shown]
	v_add_f64 v[6:7], v[8:9], -v[12:13]
	v_cmp_le_f64_e32 vcc_lo, 0.5, v[8:9]
	v_add_f64 v[0:1], v[10:11], v[0:1]
	v_add_f64 v[6:7], v[16:17], -v[6:7]
	v_cndmask_b32_e64 v28, 0, 0x3ff00000, vcc_lo
	v_add_co_ci_u32_e64 v12, null, 0, v30, vcc_lo
	v_add_f64 v[0:1], v[0:1], v[6:7]
	v_add_f64 v[6:7], v[8:9], -v[27:28]
	v_add_f64 v[8:9], v[6:7], v[0:1]
	v_mul_f64 v[10:11], v[8:9], s[6:7]
	v_add_f64 v[6:7], v[8:9], -v[6:7]
	v_fma_f64 v[13:14], v[8:9], s[6:7], -v[10:11]
	v_add_f64 v[0:1], v[0:1], -v[6:7]
	v_fma_f64 v[6:7], v[8:9], s[12:13], v[13:14]
	v_fma_f64 v[6:7], v[0:1], s[6:7], v[6:7]
	v_add_f64 v[0:1], v[10:11], v[6:7]
	v_add_f64 v[8:9], v[0:1], -v[10:11]
	v_add_f64 v[6:7], v[6:7], -v[8:9]
	s_andn2_saveexec_b32 s5, s5
	s_cbranch_execz .LBB36_44
	s_branch .LBB36_43
.LBB36_40:
	s_andn2_saveexec_b32 s5, s8
	s_cbranch_execz .LBB36_78
.LBB36_41:
	s_mov_b32 s6, 0x652b82fe
	s_mov_b32 s7, 0x3ff71547
	;; [unrolled: 1-line block ×3, first 2 shown]
	v_mul_f64 v[0:1], v[4:5], s[6:7]
	s_mov_b32 s6, 0xfefa39ef
	s_mov_b32 s7, 0xbfe62e42
	;; [unrolled: 1-line block ×3, first 2 shown]
	v_cmp_nlt_f64_e32 vcc_lo, 0x40900000, v[4:5]
	v_cmp_ngt_f64_e64 s4, 0xc090cc00, v[4:5]
	v_rndne_f64_e32 v[0:1], v[0:1]
	v_fma_f64 v[6:7], v[0:1], s[6:7], v[4:5]
	s_mov_b32 s6, 0x3b39803f
	s_mov_b32 s7, 0xbc7abc9e
	v_cvt_i32_f64_e32 v10, v[0:1]
	v_fma_f64 v[6:7], v[0:1], s[6:7], v[6:7]
	s_mov_b32 s6, 0xfca7ab0c
	s_mov_b32 s7, 0x3e928af3
	v_fma_f64 v[8:9], v[6:7], s[8:9], s[6:7]
	s_mov_b32 s6, 0x623fde64
	s_mov_b32 s7, 0x3ec71dee
	;; [unrolled: 3-line block ×9, first 2 shown]
	v_fma_f64 v[8:9], v[6:7], v[8:9], s[6:7]
	v_fma_f64 v[8:9], v[6:7], v[8:9], 1.0
	v_fma_f64 v[0:1], v[6:7], v[8:9], 1.0
	v_ldexp_f64 v[0:1], v[0:1], v10
	v_cndmask_b32_e32 v1, 0x7ff00000, v1, vcc_lo
	s_and_b32 vcc_lo, s4, vcc_lo
	v_cndmask_b32_e32 v0, 0, v0, vcc_lo
	v_cndmask_b32_e64 v1, 0, v1, s4
	s_or_b32 exec_lo, exec_lo, s5
	s_setpc_b64 s[30:31]
.LBB36_42:
	s_andn2_saveexec_b32 s5, s5
	s_cbranch_execz .LBB36_44
.LBB36_43:
	s_mov_b32 s6, 0x6dc9c883
	s_mov_b32 s7, 0x3fe45f30
	;; [unrolled: 1-line block ×3, first 2 shown]
	v_mul_f64 v[0:1], |v[2:3]|, s[6:7]
	s_mov_b32 s6, 0x54442d18
	s_mov_b32 s7, 0xbff921fb
	;; [unrolled: 1-line block ×3, first 2 shown]
	v_rndne_f64_e32 v[8:9], v[0:1]
	v_fma_f64 v[0:1], v[8:9], s[6:7], |v[2:3]|
	v_mul_f64 v[6:7], v[8:9], s[12:13]
	s_mov_b32 s6, 0x252049c0
	s_mov_b32 s7, 0xb97b839a
	v_fma_f64 v[12:13], v[8:9], s[12:13], v[0:1]
	v_add_f64 v[10:11], v[0:1], v[6:7]
	s_mov_b32 s13, 0x3c91a626
	v_add_f64 v[0:1], v[0:1], -v[10:11]
	v_add_f64 v[10:11], v[10:11], -v[12:13]
	v_add_f64 v[0:1], v[0:1], v[6:7]
	v_fma_f64 v[6:7], v[8:9], s[12:13], v[6:7]
	v_add_f64 v[0:1], v[10:11], v[0:1]
	v_add_f64 v[0:1], v[0:1], -v[6:7]
	v_fma_f64 v[6:7], v[8:9], s[6:7], v[0:1]
	v_add_f64 v[0:1], v[12:13], v[6:7]
	v_add_f64 v[10:11], v[0:1], -v[12:13]
	v_cvt_i32_f64_e32 v12, v[8:9]
	v_add_f64 v[6:7], v[6:7], -v[10:11]
.LBB36_44:
	s_or_b32 exec_lo, exec_lo, s5
                                        ; implicit-def: $vgpr13
                                        ; implicit-def: $vgpr8_vgpr9
                                        ; implicit-def: $vgpr10_vgpr11
	s_and_saveexec_b32 s5, s4
	s_xor_b32 s4, exec_lo, s5
	s_cbranch_execz .LBB36_46
; %bb.45:
	v_ldexp_f64 v[8:9], |v[2:3]|, 0xffffff80
	v_cmp_le_f64_e64 vcc_lo, 0x7b000000, |v[2:3]|
	v_trig_preop_f64 v[10:11], |v[2:3]|, 0
	v_trig_preop_f64 v[13:14], |v[2:3]|, 1
	;; [unrolled: 1-line block ×3, first 2 shown]
	v_mov_b32_e32 v31, 0
	s_mov_b32 s6, 0x54442d18
	s_mov_b32 s7, 0x3ff921fb
	;; [unrolled: 1-line block ×4, first 2 shown]
	v_cndmask_b32_e32 v9, v18, v9, vcc_lo
	v_cndmask_b32_e32 v8, v2, v8, vcc_lo
	v_mul_f64 v[15:16], v[10:11], v[8:9]
	v_mul_f64 v[17:18], v[13:14], v[8:9]
	v_mul_f64 v[29:30], v[23:24], v[8:9]
	v_fma_f64 v[10:11], v[10:11], v[8:9], -v[15:16]
	v_fma_f64 v[13:14], v[13:14], v[8:9], -v[17:18]
	;; [unrolled: 1-line block ×3, first 2 shown]
	v_add_f64 v[19:20], v[17:18], v[10:11]
	v_add_f64 v[21:22], v[19:20], -v[17:18]
	v_add_f64 v[27:28], v[15:16], v[19:20]
	v_add_f64 v[25:26], v[19:20], -v[21:22]
	v_add_f64 v[10:11], v[10:11], -v[21:22]
	v_ldexp_f64 v[21:22], v[27:28], -2
	v_add_f64 v[15:16], v[27:28], -v[15:16]
	v_add_f64 v[17:18], v[17:18], -v[25:26]
	v_add_f64 v[25:26], v[29:30], v[13:14]
	v_cmp_neq_f64_e64 vcc_lo, 0x7ff00000, |v[21:22]|
	v_add_f64 v[15:16], v[19:20], -v[15:16]
	v_add_f64 v[10:11], v[10:11], v[17:18]
	v_fract_f64_e32 v[17:18], v[21:22]
	v_add_f64 v[19:20], v[25:26], v[10:11]
	v_ldexp_f64 v[17:18], v[17:18], 2
	v_add_f64 v[21:22], v[15:16], v[19:20]
	v_cndmask_b32_e32 v18, 0, v18, vcc_lo
	v_cndmask_b32_e32 v17, 0, v17, vcc_lo
	v_add_f64 v[27:28], v[21:22], v[17:18]
	v_add_f64 v[15:16], v[21:22], -v[15:16]
	v_cmp_gt_f64_e32 vcc_lo, 0, v[27:28]
	v_add_f64 v[27:28], v[25:26], -v[29:30]
	v_cndmask_b32_e64 v32, 0, 0x40100000, vcc_lo
	v_add_f64 v[36:37], v[25:26], -v[27:28]
	v_add_f64 v[13:14], v[13:14], -v[27:28]
	v_add_f64 v[17:18], v[17:18], v[31:32]
	v_add_f64 v[32:33], v[19:20], -v[25:26]
	v_add_f64 v[27:28], v[29:30], -v[36:37]
	v_add_f64 v[34:35], v[21:22], v[17:18]
	;; [unrolled: 3-line block ×3, first 2 shown]
	v_cvt_i32_f64_e32 v34, v[34:35]
	v_add_f64 v[25:26], v[25:26], -v[38:39]
	v_cvt_f64_i32_e32 v[32:33], v34
	v_add_f64 v[10:11], v[10:11], v[25:26]
	v_add_f64 v[17:18], v[17:18], -v[32:33]
	v_add_f64 v[10:11], v[13:14], v[10:11]
	v_add_f64 v[13:14], v[19:20], -v[15:16]
	v_add_f64 v[23:24], v[21:22], v[17:18]
	v_add_f64 v[8:9], v[8:9], v[10:11]
	v_add_f64 v[10:11], v[23:24], -v[17:18]
	v_cmp_le_f64_e32 vcc_lo, 0.5, v[23:24]
	v_add_f64 v[8:9], v[13:14], v[8:9]
	v_add_f64 v[10:11], v[21:22], -v[10:11]
	v_cndmask_b32_e64 v32, 0, 0x3ff00000, vcc_lo
	v_add_co_ci_u32_e64 v13, null, 0, v34, vcc_lo
	v_add_f64 v[8:9], v[8:9], v[10:11]
	v_add_f64 v[10:11], v[23:24], -v[31:32]
	v_add_f64 v[14:15], v[10:11], v[8:9]
	v_mul_f64 v[16:17], v[14:15], s[6:7]
	v_add_f64 v[10:11], v[14:15], -v[10:11]
	v_fma_f64 v[18:19], v[14:15], s[6:7], -v[16:17]
	v_add_f64 v[8:9], v[8:9], -v[10:11]
	v_fma_f64 v[10:11], v[14:15], s[12:13], v[18:19]
	v_fma_f64 v[10:11], v[8:9], s[6:7], v[10:11]
	v_add_f64 v[8:9], v[16:17], v[10:11]
	v_add_f64 v[14:15], v[8:9], -v[16:17]
	v_add_f64 v[10:11], v[10:11], -v[14:15]
	s_andn2_saveexec_b32 s4, s4
	s_cbranch_execnz .LBB36_47
	s_branch .LBB36_48
.LBB36_46:
	s_andn2_saveexec_b32 s4, s4
	s_cbranch_execz .LBB36_48
.LBB36_47:
	s_mov_b32 s6, 0x6dc9c883
	s_mov_b32 s7, 0x3fe45f30
	s_mov_b32 s13, 0xbc91a626
	v_mul_f64 v[8:9], |v[2:3]|, s[6:7]
	s_mov_b32 s6, 0x54442d18
	s_mov_b32 s7, 0xbff921fb
	;; [unrolled: 1-line block ×3, first 2 shown]
	v_rndne_f64_e32 v[13:14], v[8:9]
	v_fma_f64 v[8:9], v[13:14], s[6:7], |v[2:3]|
	v_mul_f64 v[10:11], v[13:14], s[12:13]
	s_mov_b32 s6, 0x252049c0
	s_mov_b32 s7, 0xb97b839a
	v_fma_f64 v[17:18], v[13:14], s[12:13], v[8:9]
	v_add_f64 v[15:16], v[8:9], v[10:11]
	s_mov_b32 s13, 0x3c91a626
	v_add_f64 v[8:9], v[8:9], -v[15:16]
	v_add_f64 v[15:16], v[15:16], -v[17:18]
	v_add_f64 v[8:9], v[8:9], v[10:11]
	v_fma_f64 v[10:11], v[13:14], s[12:13], v[10:11]
	v_add_f64 v[8:9], v[15:16], v[8:9]
	v_add_f64 v[8:9], v[8:9], -v[10:11]
	v_fma_f64 v[10:11], v[13:14], s[6:7], v[8:9]
	v_cvt_i32_f64_e32 v13, v[13:14]
	v_add_f64 v[8:9], v[17:18], v[10:11]
	v_add_f64 v[15:16], v[8:9], -v[17:18]
	v_add_f64 v[10:11], v[10:11], -v[15:16]
.LBB36_48:
	s_or_b32 exec_lo, exec_lo, s4
	s_mov_b32 s4, 0x652b82fe
	s_mov_b32 s5, 0x3ff71547
	;; [unrolled: 1-line block ×3, first 2 shown]
	v_mul_f64 v[14:15], v[4:5], s[4:5]
	s_mov_b32 s4, 0xfefa39ef
	s_mov_b32 s5, 0xbfe62e42
	s_mov_b32 s7, 0x3e5ade15
	v_mul_f64 v[20:21], v[0:1], v[0:1]
	v_mul_f64 v[22:23], v[8:9], v[8:9]
	s_mov_b32 s12, 0x1852b7b0
	s_mov_b32 s13, 0x3f56c16c
	;; [unrolled: 1-line block ×6, first 2 shown]
	v_mul_f64 v[48:49], v[6:7], 0.5
	s_mov_b32 s18, 0x19f4ec90
	s_mov_b32 s19, 0x3efa01a0
	v_mul_f64 v[54:55], v[10:11], 0.5
	v_rndne_f64_e32 v[14:15], v[14:15]
	v_mul_f64 v[28:29], v[20:21], 0.5
	v_mul_f64 v[32:33], v[22:23], 0.5
	v_mul_f64 v[50:51], v[0:1], -v[20:21]
	v_mul_f64 v[64:65], v[8:9], -v[22:23]
	v_fma_f64 v[16:17], v[14:15], s[4:5], v[4:5]
	s_mov_b32 s4, 0x3b39803f
	s_mov_b32 s5, 0xbc7abc9e
	v_add_f64 v[36:37], -v[28:29], 1.0
	v_add_f64 v[38:39], -v[32:33], 1.0
	v_fma_f64 v[16:17], v[14:15], s[4:5], v[16:17]
	s_mov_b32 s4, 0xfca7ab0c
	s_mov_b32 s5, 0x3e928af3
	v_add_f64 v[52:53], -v[36:37], 1.0
	v_add_f64 v[66:67], -v[38:39], 1.0
	v_fma_f64 v[18:19], v[16:17], s[6:7], s[4:5]
	s_mov_b32 s4, 0x623fde64
	s_mov_b32 s5, 0x3ec71dee
	;; [unrolled: 1-line block ×4, first 2 shown]
	v_add_f64 v[28:29], v[52:53], -v[28:29]
	v_add_f64 v[32:33], v[66:67], -v[32:33]
	v_fma_f64 v[18:19], v[16:17], v[18:19], s[4:5]
	s_mov_b32 s4, 0x7c89e6b0
	s_mov_b32 s5, 0x3efa0199
	v_fma_f64 v[28:29], v[0:1], -v[6:7], v[28:29]
	v_fma_f64 v[18:19], v[16:17], v[18:19], s[4:5]
	s_mov_b32 s4, 0x14761f6e
	s_mov_b32 s5, 0x3f2a01a0
	v_fma_f64 v[18:19], v[16:17], v[18:19], s[4:5]
	s_mov_b32 s4, 0xb42fdfa7
	s_mov_b32 s5, 0xbe5ae600
	v_fma_f64 v[24:25], v[20:21], s[6:7], s[4:5]
	v_fma_f64 v[26:27], v[22:23], s[6:7], s[4:5]
	s_mov_b32 s6, 0x796cde01
	s_mov_b32 s7, 0x3ec71de3
	;; [unrolled: 1-line block ×4, first 2 shown]
	v_fma_f64 v[30:31], v[20:21], s[4:5], s[14:15]
	v_fma_f64 v[34:35], v[22:23], s[4:5], s[14:15]
	s_mov_b32 s4, 0xa17f65f6
	s_mov_b32 s5, 0xbe927e4f
	;; [unrolled: 1-line block ×4, first 2 shown]
	v_fma_f64 v[18:19], v[16:17], v[18:19], s[12:13]
	s_mov_b32 s13, 0x3f811111
	s_mov_b32 s12, 0x11122322
	v_fma_f64 v[24:25], v[20:21], v[24:25], s[6:7]
	v_fma_f64 v[26:27], v[22:23], v[26:27], s[6:7]
	s_mov_b32 s6, 0x19e83e5c
	s_mov_b32 s7, 0xbf2a01a0
	v_fma_f64 v[30:31], v[20:21], v[30:31], s[4:5]
	;; [unrolled: 4-line block ×3, first 2 shown]
	s_mov_b32 s12, 0x11110bb3
	v_fma_f64 v[24:25], v[20:21], v[24:25], s[6:7]
	v_fma_f64 v[26:27], v[22:23], v[26:27], s[6:7]
	s_mov_b32 s6, 0x16c16967
	s_mov_b32 s7, 0xbf56c16c
	v_fma_f64 v[30:31], v[20:21], v[30:31], s[18:19]
	v_fma_f64 v[34:35], v[22:23], v[34:35], s[18:19]
	;; [unrolled: 1-line block ×3, first 2 shown]
	s_mov_b32 s16, 0x55555555
	v_fma_f64 v[24:25], v[20:21], v[24:25], s[12:13]
	v_fma_f64 v[26:27], v[22:23], v[26:27], s[12:13]
	;; [unrolled: 1-line block ×4, first 2 shown]
	v_cmp_ngt_f64_e64 s6, 0xc090cc00, v[4:5]
	v_fma_f64 v[18:19], v[16:17], v[18:19], s[14:15]
	v_fma_f64 v[24:25], v[50:51], v[24:25], v[48:49]
	;; [unrolled: 1-line block ×3, first 2 shown]
	v_mul_f64 v[48:49], v[20:21], v[20:21]
	v_fma_f64 v[30:31], v[20:21], v[30:31], s[16:17]
	v_fma_f64 v[18:19], v[16:17], v[18:19], s[4:5]
	v_cmp_nlt_f64_e64 s5, 0x40900000, v[4:5]
	v_cmp_class_f64_e64 s4, v[2:3], 0x1f8
	v_lshlrev_b32_e32 v2, 30, v13
	v_fma_f64 v[6:7], v[20:21], v[24:25], -v[6:7]
	v_mul_f64 v[20:21], v[22:23], v[22:23]
	v_fma_f64 v[24:25], v[8:9], -v[10:11], v[32:33]
	v_fma_f64 v[32:33], v[22:23], v[34:35], s[16:17]
	v_fma_f64 v[10:11], v[22:23], v[26:27], -v[10:11]
	s_mov_b32 s17, 0xbfc55555
	v_cvt_i32_f64_e32 v26, v[14:15]
	v_fma_f64 v[22:23], v[48:49], v[30:31], v[28:29]
	v_and_b32_e32 v5, 1, v13
	v_lshlrev_b32_e32 v4, 30, v12
	v_xor_b32_e32 v2, v2, v3
	v_cmp_eq_u32_e64 s7, 0, v5
	v_and_b32_e32 v3, 0x80000000, v4
	v_and_b32_e32 v2, 0x80000000, v2
	v_fma_f64 v[18:19], v[16:17], v[18:19], 1.0
	v_fma_f64 v[6:7], v[50:51], s[16:17], v[6:7]
	v_fma_f64 v[10:11], v[64:65], s[16:17], v[10:11]
	v_fma_f64 v[14:15], v[16:17], v[18:19], 1.0
	v_fma_f64 v[16:17], v[20:21], v[32:33], v[24:25]
	v_add_f64 v[18:19], v[36:37], v[22:23]
	v_add_f64 v[0:1], v[0:1], -v[6:7]
	v_add_f64 v[8:9], v[8:9], -v[10:11]
	v_and_b32_e32 v10, 1, v12
	v_cmp_eq_u32_e32 vcc_lo, 0, v10
	v_ldexp_f64 v[6:7], v[14:15], v26
	v_add_f64 v[14:15], v[38:39], v[16:17]
	v_xor_b32_e32 v1, 0x80000000, v1
	v_cndmask_b32_e32 v0, v0, v18, vcc_lo
                                        ; implicit-def: $vgpr18
	v_cndmask_b32_e32 v1, v1, v19, vcc_lo
	s_and_b32 vcc_lo, s6, s5
	v_cndmask_b32_e64 v0, 0, v0, s4
	v_xor_b32_e32 v1, v1, v3
	v_cndmask_b32_e64 v1, 0x7ff80000, v1, s4
	v_cndmask_b32_e64 v7, 0x7ff00000, v7, s5
	;; [unrolled: 1-line block ×4, first 2 shown]
	v_xor_b32_e32 v3, v5, v2
	v_cndmask_b32_e64 v2, 0, v4, s4
	v_cndmask_b32_e64 v5, 0, v7, s6
	v_cndmask_b32_e32 v4, 0, v6, vcc_lo
	v_cndmask_b32_e64 v3, 0x7ff80000, v3, s4
	v_mul_f64 v[0:1], v[4:5], v[0:1]
	v_mul_f64 v[2:3], v[4:5], v[2:3]
                                        ; implicit-def: $vgpr4_vgpr5
.LBB36_49:
	s_andn2_saveexec_b32 s11, s11
	s_cbranch_execz .LBB36_52
; %bb.50:
	v_cmp_ngt_f64_e64 s4, 0x41d00000, |v[2:3]|
                                        ; implicit-def: $vgpr12
                                        ; implicit-def: $vgpr0_vgpr1
                                        ; implicit-def: $vgpr6_vgpr7
	s_and_saveexec_b32 s5, s4
	s_xor_b32 s5, exec_lo, s5
	s_cbranch_execz .LBB36_53
; %bb.51:
	v_ldexp_f64 v[0:1], |v[2:3]|, 0xffffff80
	v_cmp_le_f64_e64 vcc_lo, 0x7b000000, |v[2:3]|
	v_trig_preop_f64 v[6:7], |v[2:3]|, 0
	v_trig_preop_f64 v[8:9], |v[2:3]|, 1
	;; [unrolled: 1-line block ×3, first 2 shown]
	v_mov_b32_e32 v27, 0
	s_mov_b32 s6, 0x54442d18
	s_mov_b32 s7, 0x3ff921fb
	;; [unrolled: 1-line block ×4, first 2 shown]
	v_cndmask_b32_e32 v1, v18, v1, vcc_lo
	v_cndmask_b32_e32 v0, v2, v0, vcc_lo
	v_mul_f64 v[10:11], v[6:7], v[0:1]
	v_mul_f64 v[12:13], v[8:9], v[0:1]
	;; [unrolled: 1-line block ×3, first 2 shown]
	v_fma_f64 v[6:7], v[6:7], v[0:1], -v[10:11]
	v_fma_f64 v[8:9], v[8:9], v[0:1], -v[12:13]
	;; [unrolled: 1-line block ×3, first 2 shown]
	v_add_f64 v[14:15], v[12:13], v[6:7]
	v_add_f64 v[16:17], v[14:15], -v[12:13]
	v_add_f64 v[23:24], v[10:11], v[14:15]
	v_add_f64 v[21:22], v[14:15], -v[16:17]
	v_add_f64 v[6:7], v[6:7], -v[16:17]
	v_ldexp_f64 v[16:17], v[23:24], -2
	v_add_f64 v[10:11], v[23:24], -v[10:11]
	v_add_f64 v[12:13], v[12:13], -v[21:22]
	v_add_f64 v[21:22], v[25:26], v[8:9]
	v_cmp_neq_f64_e64 vcc_lo, 0x7ff00000, |v[16:17]|
	v_add_f64 v[10:11], v[14:15], -v[10:11]
	v_add_f64 v[6:7], v[6:7], v[12:13]
	v_fract_f64_e32 v[12:13], v[16:17]
	v_add_f64 v[14:15], v[21:22], v[6:7]
	v_ldexp_f64 v[12:13], v[12:13], 2
	v_add_f64 v[16:17], v[10:11], v[14:15]
	v_cndmask_b32_e32 v13, 0, v13, vcc_lo
	v_cndmask_b32_e32 v12, 0, v12, vcc_lo
	v_add_f64 v[23:24], v[16:17], v[12:13]
	v_add_f64 v[10:11], v[16:17], -v[10:11]
	v_cmp_gt_f64_e32 vcc_lo, 0, v[23:24]
	v_add_f64 v[23:24], v[21:22], -v[25:26]
	v_add_f64 v[10:11], v[14:15], -v[10:11]
	v_cndmask_b32_e64 v28, 0, 0x40100000, vcc_lo
	v_add_f64 v[32:33], v[21:22], -v[23:24]
	v_add_f64 v[8:9], v[8:9], -v[23:24]
	v_add_f64 v[12:13], v[12:13], v[27:28]
	v_add_f64 v[28:29], v[14:15], -v[21:22]
	v_add_f64 v[23:24], v[25:26], -v[32:33]
	v_add_f64 v[30:31], v[16:17], v[12:13]
	;; [unrolled: 3-line block ×3, first 2 shown]
	v_cvt_i32_f64_e32 v30, v[30:31]
	v_add_f64 v[21:22], v[21:22], -v[34:35]
	v_cvt_f64_i32_e32 v[28:29], v30
	v_add_f64 v[6:7], v[6:7], v[21:22]
	v_add_f64 v[12:13], v[12:13], -v[28:29]
	v_add_f64 v[6:7], v[8:9], v[6:7]
	v_add_f64 v[8:9], v[16:17], v[12:13]
	;; [unrolled: 1-line block ×3, first 2 shown]
	v_add_f64 v[6:7], v[8:9], -v[12:13]
	v_cmp_le_f64_e32 vcc_lo, 0.5, v[8:9]
	v_add_f64 v[0:1], v[10:11], v[0:1]
	v_add_f64 v[6:7], v[16:17], -v[6:7]
	v_cndmask_b32_e64 v28, 0, 0x3ff00000, vcc_lo
	v_add_co_ci_u32_e64 v12, null, 0, v30, vcc_lo
	v_add_f64 v[0:1], v[0:1], v[6:7]
	v_add_f64 v[6:7], v[8:9], -v[27:28]
	v_add_f64 v[8:9], v[6:7], v[0:1]
	v_mul_f64 v[10:11], v[8:9], s[6:7]
	v_add_f64 v[6:7], v[8:9], -v[6:7]
	v_fma_f64 v[13:14], v[8:9], s[6:7], -v[10:11]
	v_add_f64 v[0:1], v[0:1], -v[6:7]
	v_fma_f64 v[6:7], v[8:9], s[12:13], v[13:14]
	v_fma_f64 v[6:7], v[0:1], s[6:7], v[6:7]
	v_add_f64 v[0:1], v[10:11], v[6:7]
	v_add_f64 v[8:9], v[0:1], -v[10:11]
	v_add_f64 v[6:7], v[6:7], -v[8:9]
	s_andn2_saveexec_b32 s5, s5
	s_cbranch_execz .LBB36_55
	s_branch .LBB36_54
.LBB36_52:
	s_or_b32 exec_lo, exec_lo, s11
                                        ; implicit-def: $vgpr4_vgpr5
                                        ; implicit-def: $vgpr6
	s_andn2_saveexec_b32 s5, s10
	s_cbranch_execnz .LBB36_61
	s_branch .LBB36_66
.LBB36_53:
	s_andn2_saveexec_b32 s5, s5
	s_cbranch_execz .LBB36_55
.LBB36_54:
	s_mov_b32 s6, 0x6dc9c883
	s_mov_b32 s7, 0x3fe45f30
	;; [unrolled: 1-line block ×3, first 2 shown]
	v_mul_f64 v[0:1], |v[2:3]|, s[6:7]
	s_mov_b32 s6, 0x54442d18
	s_mov_b32 s7, 0xbff921fb
	;; [unrolled: 1-line block ×3, first 2 shown]
	v_rndne_f64_e32 v[8:9], v[0:1]
	v_fma_f64 v[0:1], v[8:9], s[6:7], |v[2:3]|
	v_mul_f64 v[6:7], v[8:9], s[12:13]
	s_mov_b32 s6, 0x252049c0
	s_mov_b32 s7, 0xb97b839a
	v_fma_f64 v[12:13], v[8:9], s[12:13], v[0:1]
	v_add_f64 v[10:11], v[0:1], v[6:7]
	s_mov_b32 s13, 0x3c91a626
	v_add_f64 v[0:1], v[0:1], -v[10:11]
	v_add_f64 v[10:11], v[10:11], -v[12:13]
	v_add_f64 v[0:1], v[0:1], v[6:7]
	v_fma_f64 v[6:7], v[8:9], s[12:13], v[6:7]
	v_add_f64 v[0:1], v[10:11], v[0:1]
	v_add_f64 v[0:1], v[0:1], -v[6:7]
	v_fma_f64 v[6:7], v[8:9], s[6:7], v[0:1]
	v_add_f64 v[0:1], v[12:13], v[6:7]
	v_add_f64 v[10:11], v[0:1], -v[12:13]
	v_cvt_i32_f64_e32 v12, v[8:9]
	v_add_f64 v[6:7], v[6:7], -v[10:11]
.LBB36_55:
	s_or_b32 exec_lo, exec_lo, s5
                                        ; implicit-def: $vgpr13
                                        ; implicit-def: $vgpr8_vgpr9
                                        ; implicit-def: $vgpr10_vgpr11
	s_and_saveexec_b32 s5, s4
	s_xor_b32 s4, exec_lo, s5
	s_cbranch_execz .LBB36_57
; %bb.56:
	v_ldexp_f64 v[8:9], |v[2:3]|, 0xffffff80
	v_cmp_le_f64_e64 vcc_lo, 0x7b000000, |v[2:3]|
	v_trig_preop_f64 v[10:11], |v[2:3]|, 0
	v_trig_preop_f64 v[13:14], |v[2:3]|, 1
	v_trig_preop_f64 v[23:24], |v[2:3]|, 2
	v_mov_b32_e32 v31, 0
	s_mov_b32 s6, 0x54442d18
	s_mov_b32 s7, 0x3ff921fb
	;; [unrolled: 1-line block ×4, first 2 shown]
	v_cndmask_b32_e32 v9, v18, v9, vcc_lo
	v_cndmask_b32_e32 v8, v2, v8, vcc_lo
	v_mul_f64 v[15:16], v[10:11], v[8:9]
	v_mul_f64 v[17:18], v[13:14], v[8:9]
	;; [unrolled: 1-line block ×3, first 2 shown]
	v_fma_f64 v[10:11], v[10:11], v[8:9], -v[15:16]
	v_fma_f64 v[13:14], v[13:14], v[8:9], -v[17:18]
	;; [unrolled: 1-line block ×3, first 2 shown]
	v_add_f64 v[19:20], v[17:18], v[10:11]
	v_add_f64 v[21:22], v[19:20], -v[17:18]
	v_add_f64 v[27:28], v[15:16], v[19:20]
	v_add_f64 v[25:26], v[19:20], -v[21:22]
	v_add_f64 v[10:11], v[10:11], -v[21:22]
	v_ldexp_f64 v[21:22], v[27:28], -2
	v_add_f64 v[15:16], v[27:28], -v[15:16]
	v_add_f64 v[17:18], v[17:18], -v[25:26]
	v_add_f64 v[25:26], v[29:30], v[13:14]
	v_cmp_neq_f64_e64 vcc_lo, 0x7ff00000, |v[21:22]|
	v_add_f64 v[15:16], v[19:20], -v[15:16]
	v_add_f64 v[10:11], v[10:11], v[17:18]
	v_fract_f64_e32 v[17:18], v[21:22]
	v_add_f64 v[19:20], v[25:26], v[10:11]
	v_ldexp_f64 v[17:18], v[17:18], 2
	v_add_f64 v[21:22], v[15:16], v[19:20]
	v_cndmask_b32_e32 v18, 0, v18, vcc_lo
	v_cndmask_b32_e32 v17, 0, v17, vcc_lo
	v_add_f64 v[27:28], v[21:22], v[17:18]
	v_add_f64 v[15:16], v[21:22], -v[15:16]
	v_cmp_gt_f64_e32 vcc_lo, 0, v[27:28]
	v_add_f64 v[27:28], v[25:26], -v[29:30]
	v_cndmask_b32_e64 v32, 0, 0x40100000, vcc_lo
	v_add_f64 v[36:37], v[25:26], -v[27:28]
	v_add_f64 v[13:14], v[13:14], -v[27:28]
	v_add_f64 v[17:18], v[17:18], v[31:32]
	v_add_f64 v[32:33], v[19:20], -v[25:26]
	v_add_f64 v[27:28], v[29:30], -v[36:37]
	v_add_f64 v[34:35], v[21:22], v[17:18]
	v_add_f64 v[38:39], v[19:20], -v[32:33]
	v_add_f64 v[10:11], v[10:11], -v[32:33]
	v_add_f64 v[13:14], v[13:14], v[27:28]
	v_cvt_i32_f64_e32 v34, v[34:35]
	v_add_f64 v[25:26], v[25:26], -v[38:39]
	v_cvt_f64_i32_e32 v[32:33], v34
	v_add_f64 v[10:11], v[10:11], v[25:26]
	v_add_f64 v[17:18], v[17:18], -v[32:33]
	v_add_f64 v[10:11], v[13:14], v[10:11]
	v_add_f64 v[13:14], v[19:20], -v[15:16]
	v_add_f64 v[23:24], v[21:22], v[17:18]
	v_add_f64 v[8:9], v[8:9], v[10:11]
	v_add_f64 v[10:11], v[23:24], -v[17:18]
	v_cmp_le_f64_e32 vcc_lo, 0.5, v[23:24]
	v_add_f64 v[8:9], v[13:14], v[8:9]
	v_add_f64 v[10:11], v[21:22], -v[10:11]
	v_cndmask_b32_e64 v32, 0, 0x3ff00000, vcc_lo
	v_add_co_ci_u32_e64 v13, null, 0, v34, vcc_lo
	v_add_f64 v[8:9], v[8:9], v[10:11]
	v_add_f64 v[10:11], v[23:24], -v[31:32]
	v_add_f64 v[14:15], v[10:11], v[8:9]
	v_mul_f64 v[16:17], v[14:15], s[6:7]
	v_add_f64 v[10:11], v[14:15], -v[10:11]
	v_fma_f64 v[18:19], v[14:15], s[6:7], -v[16:17]
	v_add_f64 v[8:9], v[8:9], -v[10:11]
	v_fma_f64 v[10:11], v[14:15], s[12:13], v[18:19]
	v_fma_f64 v[10:11], v[8:9], s[6:7], v[10:11]
	v_add_f64 v[8:9], v[16:17], v[10:11]
	v_add_f64 v[14:15], v[8:9], -v[16:17]
	v_add_f64 v[10:11], v[10:11], -v[14:15]
	s_andn2_saveexec_b32 s4, s4
	s_cbranch_execnz .LBB36_58
	s_branch .LBB36_59
.LBB36_57:
	s_andn2_saveexec_b32 s4, s4
	s_cbranch_execz .LBB36_59
.LBB36_58:
	s_mov_b32 s6, 0x6dc9c883
	s_mov_b32 s7, 0x3fe45f30
	;; [unrolled: 1-line block ×3, first 2 shown]
	v_mul_f64 v[8:9], |v[2:3]|, s[6:7]
	s_mov_b32 s6, 0x54442d18
	s_mov_b32 s7, 0xbff921fb
	;; [unrolled: 1-line block ×3, first 2 shown]
	v_rndne_f64_e32 v[13:14], v[8:9]
	v_fma_f64 v[8:9], v[13:14], s[6:7], |v[2:3]|
	v_mul_f64 v[10:11], v[13:14], s[12:13]
	s_mov_b32 s6, 0x252049c0
	s_mov_b32 s7, 0xb97b839a
	v_fma_f64 v[17:18], v[13:14], s[12:13], v[8:9]
	v_add_f64 v[15:16], v[8:9], v[10:11]
	s_mov_b32 s13, 0x3c91a626
	v_add_f64 v[8:9], v[8:9], -v[15:16]
	v_add_f64 v[15:16], v[15:16], -v[17:18]
	v_add_f64 v[8:9], v[8:9], v[10:11]
	v_fma_f64 v[10:11], v[13:14], s[12:13], v[10:11]
	v_add_f64 v[8:9], v[15:16], v[8:9]
	v_add_f64 v[8:9], v[8:9], -v[10:11]
	v_fma_f64 v[10:11], v[13:14], s[6:7], v[8:9]
	v_cvt_i32_f64_e32 v13, v[13:14]
	v_add_f64 v[8:9], v[17:18], v[10:11]
	v_add_f64 v[15:16], v[8:9], -v[17:18]
	v_add_f64 v[10:11], v[10:11], -v[15:16]
.LBB36_59:
	s_or_b32 exec_lo, exec_lo, s4
	s_mov_b32 s4, 0x19ba0da4
	s_mov_b32 s5, 0xc0937be3
	;; [unrolled: 1-line block ×3, first 2 shown]
	v_add_f64 v[4:5], v[4:5], s[4:5]
	s_mov_b32 s4, 0x652b82fe
	s_mov_b32 s5, 0x3ff71547
	;; [unrolled: 1-line block ×3, first 2 shown]
	v_mul_f64 v[20:21], v[0:1], v[0:1]
	v_mul_f64 v[22:23], v[8:9], v[8:9]
	s_mov_b32 s12, 0x1852b7b0
	s_mov_b32 s13, 0x3f56c16c
	;; [unrolled: 1-line block ×5, first 2 shown]
	v_mul_f64 v[48:49], v[6:7], 0.5
	v_mul_f64 v[54:55], v[10:11], 0.5
	v_mul_f64 v[14:15], v[4:5], s[4:5]
	s_mov_b32 s4, 0xfefa39ef
	s_mov_b32 s5, 0xbfe62e42
	v_mul_f64 v[30:31], v[20:21], 0.5
	v_mul_f64 v[34:35], v[22:23], 0.5
	v_mul_f64 v[50:51], v[0:1], -v[20:21]
	v_mul_f64 v[64:65], v[8:9], -v[22:23]
	v_rndne_f64_e32 v[14:15], v[14:15]
	v_add_f64 v[36:37], -v[30:31], 1.0
	v_add_f64 v[38:39], -v[34:35], 1.0
	v_fma_f64 v[16:17], v[14:15], s[4:5], v[4:5]
	s_mov_b32 s4, 0x3b39803f
	s_mov_b32 s5, 0xbc7abc9e
	v_add_f64 v[52:53], -v[36:37], 1.0
	v_add_f64 v[66:67], -v[38:39], 1.0
	v_fma_f64 v[16:17], v[14:15], s[4:5], v[16:17]
	s_mov_b32 s4, 0xfca7ab0c
	s_mov_b32 s5, 0x3e928af3
	v_add_f64 v[30:31], v[52:53], -v[30:31]
	v_add_f64 v[34:35], v[66:67], -v[34:35]
	v_fma_f64 v[18:19], v[16:17], s[6:7], s[4:5]
	s_mov_b32 s4, 0x623fde64
	s_mov_b32 s5, 0x3ec71dee
	s_mov_b32 s6, 0xf9a43bb8
	s_mov_b32 s7, 0x3de5e0b2
	v_fma_f64 v[30:31], v[0:1], -v[6:7], v[30:31]
	v_fma_f64 v[18:19], v[16:17], v[18:19], s[4:5]
	s_mov_b32 s4, 0x7c89e6b0
	s_mov_b32 s5, 0x3efa0199
	v_fma_f64 v[18:19], v[16:17], v[18:19], s[4:5]
	s_mov_b32 s4, 0x14761f6e
	s_mov_b32 s5, 0x3f2a01a0
	;; [unrolled: 3-line block ×3, first 2 shown]
	v_fma_f64 v[24:25], v[20:21], s[6:7], s[4:5]
	v_fma_f64 v[26:27], v[22:23], s[6:7], s[4:5]
	s_mov_b32 s6, 0x11110bb3
	s_mov_b32 s7, 0x3f811111
	;; [unrolled: 1-line block ×5, first 2 shown]
	v_fma_f64 v[18:19], v[16:17], v[18:19], s[12:13]
	s_mov_b32 s12, 0x9037ab78
	s_mov_b32 s13, 0x3e21eeb6
	v_fma_f64 v[24:25], v[20:21], v[24:25], s[4:5]
	v_fma_f64 v[28:29], v[20:21], s[14:15], s[12:13]
	;; [unrolled: 1-line block ×4, first 2 shown]
	s_mov_b32 s4, 0x55555555
	s_mov_b32 s5, 0x3fa55555
	;; [unrolled: 1-line block ×6, first 2 shown]
	v_fma_f64 v[18:19], v[16:17], v[18:19], s[16:17]
	s_mov_b32 s16, 0xa17f65f6
	s_mov_b32 s17, 0xbe927e4f
	v_fma_f64 v[24:25], v[20:21], v[24:25], s[12:13]
	v_fma_f64 v[28:29], v[20:21], v[28:29], s[16:17]
	;; [unrolled: 1-line block ×4, first 2 shown]
	s_mov_b32 s12, 0x55555511
	s_mov_b32 s13, 0x3fc55555
	v_fma_f64 v[18:19], v[16:17], v[18:19], s[14:15]
	s_mov_b32 s14, 0x19f4ec90
	s_mov_b32 s15, 0x3efa01a0
	v_fma_f64 v[24:25], v[20:21], v[24:25], s[6:7]
	v_fma_f64 v[28:29], v[20:21], v[28:29], s[14:15]
	;; [unrolled: 1-line block ×4, first 2 shown]
	s_mov_b32 s6, 0x16c16967
	s_mov_b32 s7, 0xbf56c16c
	v_fma_f64 v[18:19], v[16:17], v[18:19], s[12:13]
	s_mov_b32 s12, 11
	s_mov_b32 s13, 0x3fe00000
	v_fma_f64 v[24:25], v[50:51], v[24:25], v[48:49]
	v_fma_f64 v[28:29], v[20:21], v[28:29], s[6:7]
	;; [unrolled: 1-line block ×4, first 2 shown]
	v_mul_f64 v[48:49], v[20:21], v[20:21]
	v_cmp_ngt_f64_e64 s6, 0xc090cc00, v[4:5]
	v_fma_f64 v[18:19], v[16:17], v[18:19], s[12:13]
	v_fma_f64 v[6:7], v[20:21], v[24:25], -v[6:7]
	v_fma_f64 v[28:29], v[20:21], v[28:29], s[4:5]
	v_mul_f64 v[20:21], v[22:23], v[22:23]
	v_fma_f64 v[24:25], v[22:23], v[32:33], s[4:5]
	v_fma_f64 v[32:33], v[8:9], -v[10:11], v[34:35]
	v_fma_f64 v[10:11], v[22:23], v[26:27], -v[10:11]
	s_mov_b32 s5, 0xbfc55555
	v_cvt_i32_f64_e32 v26, v[14:15]
	v_fma_f64 v[18:19], v[16:17], v[18:19], 1.0
	v_fma_f64 v[6:7], v[50:51], s[4:5], v[6:7]
	v_fma_f64 v[22:23], v[48:49], v[28:29], v[30:31]
	;; [unrolled: 1-line block ×3, first 2 shown]
	v_cmp_nlt_f64_e64 s5, 0x40900000, v[4:5]
	v_cmp_class_f64_e64 s4, v[2:3], 0x1f8
	v_lshlrev_b32_e32 v2, 30, v13
	v_and_b32_e32 v5, 1, v13
	v_lshlrev_b32_e32 v4, 30, v12
	v_xor_b32_e32 v2, v2, v3
	v_cmp_eq_u32_e64 s7, 0, v5
	v_and_b32_e32 v3, 0x80000000, v4
	v_and_b32_e32 v2, 0x80000000, v2
	v_fma_f64 v[14:15], v[16:17], v[18:19], 1.0
	v_fma_f64 v[16:17], v[20:21], v[24:25], v[32:33]
	v_add_f64 v[0:1], v[0:1], -v[6:7]
	v_add_f64 v[18:19], v[36:37], v[22:23]
	v_add_f64 v[8:9], v[8:9], -v[10:11]
	v_and_b32_e32 v10, 1, v12
	v_cmp_eq_u32_e32 vcc_lo, 0, v10
	v_ldexp_f64 v[6:7], v[14:15], v26
	v_add_f64 v[14:15], v[38:39], v[16:17]
	v_xor_b32_e32 v1, 0x80000000, v1
	v_cndmask_b32_e32 v0, v0, v18, vcc_lo
	v_cndmask_b32_e32 v1, v1, v19, vcc_lo
	s_and_b32 vcc_lo, s6, s5
	v_cndmask_b32_e64 v0, 0, v0, s4
	v_xor_b32_e32 v1, v1, v3
	v_cndmask_b32_e64 v1, 0x7ff80000, v1, s4
	v_cndmask_b32_e64 v7, 0x7ff00000, v7, s5
	;; [unrolled: 1-line block ×5, first 2 shown]
	s_mov_b32 s7, 0xfffff
	v_lshrrev_b32_e32 v3, 20, v4
	v_xor_b32_e32 v7, v7, v2
	v_cndmask_b32_e64 v2, 0, v5, s4
	v_and_or_b32 v5, v4, s7, 0x7fe00000
	v_cndmask_b32_e32 v4, 0, v6, vcc_lo
	v_add_nc_u32_e32 v8, 0xffffff09, v3
	v_cndmask_b32_e64 v3, 0x7ff80000, v7, s4
	v_mul_f64 v[0:1], v[4:5], v[0:1]
	v_lshrrev_b16 v6, 15, v8
	v_mul_f64 v[2:3], v[4:5], v[2:3]
	v_add_nc_u16 v4, v8, v6
	v_ashrrev_i16 v4, 1, v4
	v_bfe_i32 v6, v4, 0, 16
	v_mov_b32_e32 v4, 0
	v_lshl_add_u32 v5, v6, 20, 0x3ff00000
	v_mul_f64 v[0:1], v[0:1], v[4:5]
	v_mul_f64 v[2:3], v[2:3], v[4:5]
	v_sub_nc_u32_e32 v5, v8, v6
	v_lshl_add_u32 v5, v5, 20, 0x3ff00000
	v_mul_f64 v[0:1], v[0:1], v[4:5]
	v_mul_f64 v[2:3], v[2:3], v[4:5]
	s_or_b32 exec_lo, exec_lo, s11
                                        ; implicit-def: $vgpr4_vgpr5
                                        ; implicit-def: $vgpr6
.LBB36_60:
	s_andn2_saveexec_b32 s5, s10
	s_cbranch_execz .LBB36_66
.LBB36_61:
	v_add_f64 v[2:3], v[2:3], -v[2:3]
	v_cmp_ne_u32_e32 vcc_lo, 0, v4
	v_cmp_ne_u32_e64 s4, 0x7ff00000, v6
	s_or_b32 s4, vcc_lo, s4
	s_and_saveexec_b32 s6, s4
	s_xor_b32 s4, exec_lo, s6
; %bb.62:
                                        ; implicit-def: $vgpr4_vgpr5
; %bb.63:
	s_or_saveexec_b32 s4, s4
	v_mov_b32_e32 v0, v2
	v_mov_b32_e32 v1, v3
	s_xor_b32 exec_lo, exec_lo, s4
; %bb.64:
	v_cmp_lt_i64_e32 vcc_lo, -1, v[4:5]
	v_cndmask_b32_e32 v1, 0, v5, vcc_lo
	v_cndmask_b32_e32 v0, 0, v4, vcc_lo
	;; [unrolled: 1-line block ×4, first 2 shown]
; %bb.65:
	s_or_b32 exec_lo, exec_lo, s4
.LBB36_66:
	s_or_b32 exec_lo, exec_lo, s5
                                        ; implicit-def: $vgpr18
.LBB36_67:
	s_andn2_saveexec_b32 s6, s9
	s_cbranch_execz .LBB36_77
; %bb.68:
	v_cmp_ngt_f64_e64 s4, 0x41d00000, |v[2:3]|
	v_trig_preop_f64 v[10:11], |v[2:3]|, 0
	v_trig_preop_f64 v[8:9], |v[2:3]|, 1
	v_ldexp_f64 v[14:15], |v[2:3]|, 0xffffff80
	v_trig_preop_f64 v[6:7], |v[2:3]|, 2
                                        ; implicit-def: $vgpr19
                                        ; implicit-def: $vgpr0_vgpr1
                                        ; implicit-def: $vgpr4_vgpr5
	s_and_saveexec_b32 s5, s4
	s_xor_b32 s5, exec_lo, s5
	s_cbranch_execz .LBB36_70
; %bb.69:
	v_cmp_le_f64_e64 vcc_lo, 0x7b000000, |v[2:3]|
	v_mov_b32_e32 v31, 0
	s_mov_b32 s10, 0x54442d18
	s_mov_b32 s11, 0x3ff921fb
	s_mov_b32 s12, 0x33145c07
	s_mov_b32 s13, 0x3c91a626
	v_cndmask_b32_e32 v1, v18, v15, vcc_lo
	v_cndmask_b32_e32 v0, v2, v14, vcc_lo
	v_mul_f64 v[4:5], v[10:11], v[0:1]
	v_mul_f64 v[12:13], v[8:9], v[0:1]
	;; [unrolled: 1-line block ×3, first 2 shown]
	v_fma_f64 v[16:17], v[10:11], v[0:1], -v[4:5]
	v_fma_f64 v[29:30], v[8:9], v[0:1], -v[12:13]
	;; [unrolled: 1-line block ×3, first 2 shown]
	v_add_f64 v[19:20], v[12:13], v[16:17]
	v_add_f64 v[21:22], v[19:20], -v[12:13]
	v_add_f64 v[25:26], v[4:5], v[19:20]
	v_add_f64 v[23:24], v[19:20], -v[21:22]
	v_add_f64 v[16:17], v[16:17], -v[21:22]
	v_ldexp_f64 v[21:22], v[25:26], -2
	v_add_f64 v[4:5], v[25:26], -v[4:5]
	v_add_f64 v[12:13], v[12:13], -v[23:24]
	v_add_f64 v[23:24], v[27:28], v[29:30]
	v_cmp_neq_f64_e64 vcc_lo, 0x7ff00000, |v[21:22]|
	v_add_f64 v[4:5], v[19:20], -v[4:5]
	v_add_f64 v[12:13], v[16:17], v[12:13]
	v_fract_f64_e32 v[16:17], v[21:22]
	v_add_f64 v[19:20], v[23:24], v[12:13]
	v_ldexp_f64 v[16:17], v[16:17], 2
	v_add_f64 v[21:22], v[4:5], v[19:20]
	v_cndmask_b32_e32 v17, 0, v17, vcc_lo
	v_cndmask_b32_e32 v16, 0, v16, vcc_lo
	v_add_f64 v[25:26], v[21:22], v[16:17]
	v_add_f64 v[4:5], v[21:22], -v[4:5]
	v_cmp_gt_f64_e32 vcc_lo, 0, v[25:26]
	v_add_f64 v[25:26], v[23:24], -v[27:28]
	v_add_f64 v[4:5], v[19:20], -v[4:5]
	v_cndmask_b32_e64 v32, 0, 0x40100000, vcc_lo
	v_add_f64 v[36:37], v[23:24], -v[25:26]
	v_add_f64 v[25:26], v[29:30], -v[25:26]
	v_add_f64 v[16:17], v[16:17], v[31:32]
	v_add_f64 v[32:33], v[19:20], -v[23:24]
	v_add_f64 v[29:30], v[27:28], -v[36:37]
	v_add_f64 v[34:35], v[21:22], v[16:17]
	;; [unrolled: 3-line block ×3, first 2 shown]
	v_cvt_i32_f64_e32 v34, v[34:35]
	v_add_f64 v[23:24], v[23:24], -v[38:39]
	v_cvt_f64_i32_e32 v[32:33], v34
	v_add_f64 v[12:13], v[12:13], v[23:24]
	v_add_f64 v[16:17], v[16:17], -v[32:33]
	v_add_f64 v[12:13], v[25:26], v[12:13]
	v_add_f64 v[23:24], v[21:22], v[16:17]
	;; [unrolled: 1-line block ×3, first 2 shown]
	v_add_f64 v[12:13], v[23:24], -v[16:17]
	v_cmp_le_f64_e32 vcc_lo, 0.5, v[23:24]
	v_add_f64 v[0:1], v[4:5], v[0:1]
	v_add_f64 v[4:5], v[21:22], -v[12:13]
	v_cndmask_b32_e64 v32, 0, 0x3ff00000, vcc_lo
	v_add_co_ci_u32_e64 v19, null, 0, v34, vcc_lo
	v_add_f64 v[0:1], v[0:1], v[4:5]
	v_add_f64 v[4:5], v[23:24], -v[31:32]
	v_add_f64 v[12:13], v[4:5], v[0:1]
	v_mul_f64 v[16:17], v[12:13], s[10:11]
	v_add_f64 v[4:5], v[12:13], -v[4:5]
	v_fma_f64 v[20:21], v[12:13], s[10:11], -v[16:17]
	v_add_f64 v[0:1], v[0:1], -v[4:5]
	v_fma_f64 v[4:5], v[12:13], s[12:13], v[20:21]
	v_fma_f64 v[4:5], v[0:1], s[10:11], v[4:5]
	v_add_f64 v[0:1], v[16:17], v[4:5]
	v_add_f64 v[12:13], v[0:1], -v[16:17]
	v_add_f64 v[4:5], v[4:5], -v[12:13]
	s_andn2_saveexec_b32 s5, s5
	s_cbranch_execz .LBB36_72
	s_branch .LBB36_71
.LBB36_70:
	s_andn2_saveexec_b32 s5, s5
	s_cbranch_execz .LBB36_72
.LBB36_71:
	s_mov_b32 s10, 0x6dc9c883
	s_mov_b32 s11, 0x3fe45f30
	s_mov_b32 s13, 0xbc91a626
	v_mul_f64 v[0:1], |v[2:3]|, s[10:11]
	s_mov_b32 s10, 0x54442d18
	s_mov_b32 s11, 0xbff921fb
	;; [unrolled: 1-line block ×3, first 2 shown]
	v_rndne_f64_e32 v[12:13], v[0:1]
	v_fma_f64 v[0:1], v[12:13], s[10:11], |v[2:3]|
	v_mul_f64 v[4:5], v[12:13], s[12:13]
	s_mov_b32 s10, 0x252049c0
	s_mov_b32 s11, 0xb97b839a
	v_fma_f64 v[19:20], v[12:13], s[12:13], v[0:1]
	v_add_f64 v[16:17], v[0:1], v[4:5]
	s_mov_b32 s13, 0x3c91a626
	v_add_f64 v[0:1], v[0:1], -v[16:17]
	v_add_f64 v[16:17], v[16:17], -v[19:20]
	v_add_f64 v[0:1], v[0:1], v[4:5]
	v_fma_f64 v[4:5], v[12:13], s[12:13], v[4:5]
	v_add_f64 v[0:1], v[16:17], v[0:1]
	v_add_f64 v[0:1], v[0:1], -v[4:5]
	v_fma_f64 v[4:5], v[12:13], s[10:11], v[0:1]
	v_add_f64 v[0:1], v[19:20], v[4:5]
	v_add_f64 v[16:17], v[0:1], -v[19:20]
	v_cvt_i32_f64_e32 v19, v[12:13]
	v_add_f64 v[4:5], v[4:5], -v[16:17]
.LBB36_72:
	s_or_b32 exec_lo, exec_lo, s5
                                        ; implicit-def: $vgpr20
                                        ; implicit-def: $vgpr12_vgpr13
                                        ; implicit-def: $vgpr16_vgpr17
	s_and_saveexec_b32 s5, s4
	s_xor_b32 s4, exec_lo, s5
	s_cbranch_execz .LBB36_74
; %bb.73:
	v_cmp_le_f64_e64 vcc_lo, 0x7b000000, |v[2:3]|
	v_mov_b32_e32 v30, 0
	s_mov_b32 s10, 0x54442d18
	s_mov_b32 s11, 0x3ff921fb
	;; [unrolled: 1-line block ×4, first 2 shown]
	v_cndmask_b32_e32 v13, v18, v15, vcc_lo
	v_cndmask_b32_e32 v12, v2, v14, vcc_lo
	v_mul_f64 v[14:15], v[10:11], v[12:13]
	v_mul_f64 v[16:17], v[8:9], v[12:13]
	;; [unrolled: 1-line block ×3, first 2 shown]
	v_fma_f64 v[10:11], v[10:11], v[12:13], -v[14:15]
	v_fma_f64 v[8:9], v[8:9], v[12:13], -v[16:17]
	;; [unrolled: 1-line block ×3, first 2 shown]
	v_add_f64 v[20:21], v[16:17], v[10:11]
	v_add_f64 v[22:23], v[20:21], -v[16:17]
	v_add_f64 v[26:27], v[14:15], v[20:21]
	v_add_f64 v[24:25], v[20:21], -v[22:23]
	v_add_f64 v[10:11], v[10:11], -v[22:23]
	v_ldexp_f64 v[22:23], v[26:27], -2
	v_add_f64 v[14:15], v[26:27], -v[14:15]
	v_add_f64 v[16:17], v[16:17], -v[24:25]
	v_add_f64 v[24:25], v[28:29], v[8:9]
	v_cmp_neq_f64_e64 vcc_lo, 0x7ff00000, |v[22:23]|
	v_add_f64 v[14:15], v[20:21], -v[14:15]
	v_add_f64 v[10:11], v[10:11], v[16:17]
	v_fract_f64_e32 v[16:17], v[22:23]
	v_add_f64 v[20:21], v[24:25], v[10:11]
	v_ldexp_f64 v[16:17], v[16:17], 2
	v_add_f64 v[22:23], v[14:15], v[20:21]
	v_cndmask_b32_e32 v17, 0, v17, vcc_lo
	v_cndmask_b32_e32 v16, 0, v16, vcc_lo
	v_add_f64 v[26:27], v[22:23], v[16:17]
	v_add_f64 v[12:13], v[22:23], -v[14:15]
	v_cmp_gt_f64_e32 vcc_lo, 0, v[26:27]
	v_add_f64 v[26:27], v[24:25], -v[28:29]
	v_add_f64 v[12:13], v[20:21], -v[12:13]
	v_cndmask_b32_e64 v31, 0, 0x40100000, vcc_lo
	v_add_f64 v[35:36], v[24:25], -v[26:27]
	v_add_f64 v[8:9], v[8:9], -v[26:27]
	v_add_f64 v[16:17], v[16:17], v[30:31]
	v_add_f64 v[31:32], v[20:21], -v[24:25]
	v_add_f64 v[26:27], v[28:29], -v[35:36]
	v_add_f64 v[33:34], v[22:23], v[16:17]
	;; [unrolled: 3-line block ×3, first 2 shown]
	v_cvt_i32_f64_e32 v18, v[33:34]
	v_add_f64 v[24:25], v[24:25], -v[37:38]
	v_cvt_f64_i32_e32 v[31:32], v18
	v_add_f64 v[10:11], v[10:11], v[24:25]
	v_add_f64 v[16:17], v[16:17], -v[31:32]
	v_add_f64 v[8:9], v[8:9], v[10:11]
	v_add_f64 v[10:11], v[22:23], v[16:17]
	;; [unrolled: 1-line block ×3, first 2 shown]
	v_add_f64 v[8:9], v[10:11], -v[16:17]
	v_cmp_le_f64_e32 vcc_lo, 0.5, v[10:11]
	v_add_f64 v[6:7], v[12:13], v[6:7]
	v_add_f64 v[8:9], v[22:23], -v[8:9]
	v_cndmask_b32_e64 v31, 0, 0x3ff00000, vcc_lo
	v_add_co_ci_u32_e64 v20, null, 0, v18, vcc_lo
	v_add_f64 v[6:7], v[6:7], v[8:9]
	v_add_f64 v[8:9], v[10:11], -v[30:31]
	v_add_f64 v[10:11], v[8:9], v[6:7]
	v_mul_f64 v[14:15], v[10:11], s[10:11]
	v_add_f64 v[8:9], v[10:11], -v[8:9]
	v_fma_f64 v[12:13], v[10:11], s[10:11], -v[14:15]
	v_add_f64 v[6:7], v[6:7], -v[8:9]
	v_fma_f64 v[8:9], v[10:11], s[12:13], v[12:13]
	v_fma_f64 v[6:7], v[6:7], s[10:11], v[8:9]
	v_add_f64 v[12:13], v[14:15], v[6:7]
	v_add_f64 v[8:9], v[12:13], -v[14:15]
	v_add_f64 v[16:17], v[6:7], -v[8:9]
	s_andn2_saveexec_b32 s4, s4
	s_cbranch_execnz .LBB36_75
	s_branch .LBB36_76
.LBB36_74:
	s_andn2_saveexec_b32 s4, s4
	s_cbranch_execz .LBB36_76
.LBB36_75:
	s_mov_b32 s10, 0x6dc9c883
	s_mov_b32 s11, 0x3fe45f30
	;; [unrolled: 1-line block ×3, first 2 shown]
	v_mul_f64 v[6:7], |v[2:3]|, s[10:11]
	s_mov_b32 s10, 0x54442d18
	s_mov_b32 s11, 0xbff921fb
	;; [unrolled: 1-line block ×3, first 2 shown]
	v_rndne_f64_e32 v[6:7], v[6:7]
	v_fma_f64 v[8:9], v[6:7], s[10:11], |v[2:3]|
	v_mul_f64 v[10:11], v[6:7], s[12:13]
	s_mov_b32 s10, 0x252049c0
	s_mov_b32 s11, 0xb97b839a
	v_cvt_i32_f64_e32 v20, v[6:7]
	v_fma_f64 v[14:15], v[6:7], s[12:13], v[8:9]
	v_add_f64 v[12:13], v[8:9], v[10:11]
	s_mov_b32 s13, 0x3c91a626
	v_add_f64 v[8:9], v[8:9], -v[12:13]
	v_add_f64 v[12:13], v[12:13], -v[14:15]
	v_add_f64 v[8:9], v[8:9], v[10:11]
	v_fma_f64 v[10:11], v[6:7], s[12:13], v[10:11]
	v_add_f64 v[8:9], v[12:13], v[8:9]
	v_add_f64 v[8:9], v[8:9], -v[10:11]
	v_fma_f64 v[8:9], v[6:7], s[10:11], v[8:9]
	v_add_f64 v[12:13], v[14:15], v[8:9]
	v_add_f64 v[10:11], v[12:13], -v[14:15]
	v_add_f64 v[16:17], v[8:9], -v[10:11]
.LBB36_76:
	s_or_b32 exec_lo, exec_lo, s4
	v_mul_f64 v[6:7], v[0:1], v[0:1]
	v_mul_f64 v[8:9], v[12:13], v[12:13]
	s_mov_b32 s4, 0xb42fdfa7
	s_mov_b32 s10, 0xf9a43bb8
	;; [unrolled: 1-line block ×6, first 2 shown]
	v_mul_f64 v[33:34], v[4:5], 0.5
	v_mul_f64 v[48:49], v[16:17], 0.5
	v_fma_f64 v[10:11], v[6:7], s[10:11], s[4:5]
	v_fma_f64 v[14:15], v[8:9], s[10:11], s[4:5]
	s_mov_b32 s10, 0x796cde01
	s_mov_b32 s11, 0x3ec71de3
	v_mul_f64 v[23:24], v[6:7], 0.5
	s_mov_b32 s4, 0x46cc5e42
	s_mov_b32 s5, 0xbda907db
	v_mul_f64 v[27:28], v[8:9], 0.5
	v_fma_f64 v[21:22], v[6:7], s[4:5], s[12:13]
	v_fma_f64 v[25:26], v[8:9], s[4:5], s[12:13]
	s_mov_b32 s4, 0xa17f65f6
	s_mov_b32 s5, 0xbe927e4f
	v_mul_f64 v[35:36], v[0:1], -v[6:7]
	s_mov_b32 s12, 0x19f4ec90
	s_mov_b32 s13, 0x3efa01a0
	v_mul_f64 v[50:51], v[12:13], -v[8:9]
	v_fma_f64 v[10:11], v[6:7], v[10:11], s[10:11]
	v_fma_f64 v[14:15], v[8:9], v[14:15], s[10:11]
	s_mov_b32 s10, 0x19e83e5c
	s_mov_b32 s11, 0xbf2a01a0
	v_add_f64 v[29:30], -v[23:24], 1.0
	v_add_f64 v[31:32], -v[27:28], 1.0
	v_fma_f64 v[21:22], v[6:7], v[21:22], s[4:5]
	v_fma_f64 v[25:26], v[8:9], v[25:26], s[4:5]
	s_mov_b32 s4, 0x11110bb3
	s_mov_b32 s5, 0x3f811111
	v_fma_f64 v[10:11], v[6:7], v[10:11], s[10:11]
	v_fma_f64 v[14:15], v[8:9], v[14:15], s[10:11]
	v_add_f64 v[37:38], -v[29:30], 1.0
	v_add_f64 v[52:53], -v[31:32], 1.0
	v_fma_f64 v[21:22], v[6:7], v[21:22], s[12:13]
	v_fma_f64 v[25:26], v[8:9], v[25:26], s[12:13]
	;; [unrolled: 1-line block ×4, first 2 shown]
	s_mov_b32 s4, 0x16c16967
	s_mov_b32 s5, 0xbf56c16c
	v_add_f64 v[23:24], v[37:38], -v[23:24]
	v_add_f64 v[27:28], v[52:53], -v[27:28]
	v_fma_f64 v[21:22], v[6:7], v[21:22], s[4:5]
	v_fma_f64 v[25:26], v[8:9], v[25:26], s[4:5]
	s_mov_b32 s4, 0x55555555
	s_mov_b32 s5, 0x3fa55555
	v_fma_f64 v[10:11], v[35:36], v[10:11], v[33:34]
	v_fma_f64 v[14:15], v[50:51], v[14:15], v[48:49]
	v_mul_f64 v[33:34], v[6:7], v[6:7]
	v_fma_f64 v[23:24], v[0:1], -v[4:5], v[23:24]
	v_fma_f64 v[21:22], v[6:7], v[21:22], s[4:5]
	v_fma_f64 v[4:5], v[6:7], v[10:11], -v[4:5]
	v_mul_f64 v[6:7], v[8:9], v[8:9]
	v_fma_f64 v[10:11], v[8:9], v[25:26], s[4:5]
	v_fma_f64 v[25:26], v[12:13], -v[16:17], v[27:28]
	v_fma_f64 v[8:9], v[8:9], v[14:15], -v[16:17]
	s_mov_b32 s5, 0xbfc55555
	v_fma_f64 v[14:15], v[33:34], v[21:22], v[23:24]
	v_fma_f64 v[4:5], v[35:36], s[4:5], v[4:5]
	;; [unrolled: 1-line block ×4, first 2 shown]
	v_cmp_class_f64_e64 s4, v[2:3], 0x1f8
	v_lshlrev_b32_e32 v2, 30, v20
	v_add_f64 v[10:11], v[29:30], v[14:15]
	v_xor_b32_e32 v2, v2, v3
	v_and_b32_e32 v2, 0x80000000, v2
	v_add_f64 v[0:1], v[0:1], -v[4:5]
	v_add_f64 v[4:5], v[31:32], v[6:7]
	v_add_f64 v[6:7], v[12:13], -v[8:9]
	v_and_b32_e32 v8, 1, v19
	v_lshlrev_b32_e32 v9, 30, v19
	v_cmp_eq_u32_e32 vcc_lo, 0, v8
	v_and_b32_e32 v8, 1, v20
	v_and_b32_e32 v3, 0x80000000, v9
	v_cmp_eq_u32_e64 s5, 0, v8
	v_xor_b32_e32 v1, 0x80000000, v1
	v_cndmask_b32_e32 v0, v0, v10, vcc_lo
	v_cndmask_b32_e64 v5, v5, v7, s5
	v_cndmask_b32_e32 v1, v1, v11, vcc_lo
	v_cndmask_b32_e64 v4, v4, v6, s5
	v_cndmask_b32_e64 v0, 0, v0, s4
	v_xor_b32_e32 v1, v1, v3
	v_xor_b32_e32 v3, v5, v2
	v_cndmask_b32_e64 v2, 0, v4, s4
	v_cndmask_b32_e64 v1, 0x7ff80000, v1, s4
	;; [unrolled: 1-line block ×3, first 2 shown]
.LBB36_77:
	s_or_b32 exec_lo, exec_lo, s6
                                        ; implicit-def: $vgpr4_vgpr5
	s_andn2_saveexec_b32 s5, s8
	s_cbranch_execnz .LBB36_41
.LBB36_78:
	s_or_b32 exec_lo, exec_lo, s5
	s_setpc_b64 s[30:31]
.Lfunc_end36:
	.size	_ZN16c10_complex_math3powIdEEN3c107complexIT_EERKS4_S6_, .Lfunc_end36-_ZN16c10_complex_math3powIdEEN3c107complexIT_EERKS4_S6_
                                        ; -- End function
	.set .L_ZN16c10_complex_math3powIdEEN3c107complexIT_EERKS4_S6_.num_vgpr, 68
	.set .L_ZN16c10_complex_math3powIdEEN3c107complexIT_EERKS4_S6_.num_agpr, 0
	.set .L_ZN16c10_complex_math3powIdEEN3c107complexIT_EERKS4_S6_.numbered_sgpr, 32
	.set .L_ZN16c10_complex_math3powIdEEN3c107complexIT_EERKS4_S6_.num_named_barrier, 0
	.set .L_ZN16c10_complex_math3powIdEEN3c107complexIT_EERKS4_S6_.private_seg_size, 0
	.set .L_ZN16c10_complex_math3powIdEEN3c107complexIT_EERKS4_S6_.uses_vcc, 1
	.set .L_ZN16c10_complex_math3powIdEEN3c107complexIT_EERKS4_S6_.uses_flat_scratch, 0
	.set .L_ZN16c10_complex_math3powIdEEN3c107complexIT_EERKS4_S6_.has_dyn_sized_stack, 0
	.set .L_ZN16c10_complex_math3powIdEEN3c107complexIT_EERKS4_S6_.has_recursion, 0
	.set .L_ZN16c10_complex_math3powIdEEN3c107complexIT_EERKS4_S6_.has_indirect_call, 0
	.section	.AMDGPU.csdata,"",@progbits
; Function info:
; codeLenInByte = 22636
; TotalNumSgprs: 34
; NumVgprs: 68
; ScratchSize: 0
; MemoryBound: 0
	.section	.text._ZN12_GLOBAL__N_141elementwise_kernel_with_index_grid_strideIiZZZN2at6native17logspace_cuda_outERKN3c106ScalarES6_ldRNS1_6TensorEENKUlvE0_clEvENKUlvE1_clEvEUllE_EEvT_T0_PN15function_traitsISD_E11result_typeE,"axG",@progbits,_ZN12_GLOBAL__N_141elementwise_kernel_with_index_grid_strideIiZZZN2at6native17logspace_cuda_outERKN3c106ScalarES6_ldRNS1_6TensorEENKUlvE0_clEvENKUlvE1_clEvEUllE_EEvT_T0_PN15function_traitsISD_E11result_typeE,comdat
	.globl	_ZN12_GLOBAL__N_141elementwise_kernel_with_index_grid_strideIiZZZN2at6native17logspace_cuda_outERKN3c106ScalarES6_ldRNS1_6TensorEENKUlvE0_clEvENKUlvE1_clEvEUllE_EEvT_T0_PN15function_traitsISD_E11result_typeE ; -- Begin function _ZN12_GLOBAL__N_141elementwise_kernel_with_index_grid_strideIiZZZN2at6native17logspace_cuda_outERKN3c106ScalarES6_ldRNS1_6TensorEENKUlvE0_clEvENKUlvE1_clEvEUllE_EEvT_T0_PN15function_traitsISD_E11result_typeE
	.p2align	8
	.type	_ZN12_GLOBAL__N_141elementwise_kernel_with_index_grid_strideIiZZZN2at6native17logspace_cuda_outERKN3c106ScalarES6_ldRNS1_6TensorEENKUlvE0_clEvENKUlvE1_clEvEUllE_EEvT_T0_PN15function_traitsISD_E11result_typeE,@function
_ZN12_GLOBAL__N_141elementwise_kernel_with_index_grid_strideIiZZZN2at6native17logspace_cuda_outERKN3c106ScalarES6_ldRNS1_6TensorEENKUlvE0_clEvENKUlvE1_clEvEUllE_EEvT_T0_PN15function_traitsISD_E11result_typeE: ; @_ZN12_GLOBAL__N_141elementwise_kernel_with_index_grid_strideIiZZZN2at6native17logspace_cuda_outERKN3c106ScalarES6_ldRNS1_6TensorEENKUlvE0_clEvENKUlvE1_clEvEUllE_EEvT_T0_PN15function_traitsISD_E11result_typeE
; %bb.0:
	s_add_u32 s0, s0, s7
	s_clause 0x1
	s_load_dword s7, s[4:5], 0x84
	s_load_dword s21, s[4:5], 0x0
	s_addc_u32 s1, s1, 0
	s_add_u32 s8, s4, 0x78
	s_addc_u32 s9, s5, 0
	s_mov_b32 s32, 0
	s_waitcnt lgkmcnt(0)
	s_and_b32 s7, s7, 0xffff
	v_mad_u64_u32 v[40:41], null, s6, s7, v[0:1]
	s_mov_b32 s6, exec_lo
	v_cmpx_gt_i32_e64 s21, v40
	s_cbranch_execz .LBB37_7
; %bb.1:
	s_load_dword s6, s[8:9], 0x0
	s_clause 0x1
	s_load_dwordx8 s[24:31], s[4:5], 0x30
	s_load_dwordx2 s[8:9], s[4:5], 0x70
	v_ashrrev_i32_e32 v41, 31, v40
	s_clause 0x2
	s_load_dwordx8 s[36:43], s[4:5], 0x10
	s_load_dwordx2 s[22:23], s[4:5], 0x60
	s_load_dwordx4 s[44:47], s[4:5], 0x50
	v_not_b32_e32 v2, v40
	s_mov_b32 s33, 0
	v_lshlrev_b64 v[0:1], 4, v[40:41]
	v_not_b32_e32 v3, v41
	s_waitcnt lgkmcnt(0)
	s_mul_i32 s34, s6, s7
	v_add_co_u32 v44, vcc_lo, v2, s28
	v_add_co_ci_u32_e64 v45, null, s29, v3, vcc_lo
	v_add_co_u32 v0, vcc_lo, s8, v0
	v_add_co_ci_u32_e64 v1, null, s9, v1, vcc_lo
	s_ashr_i32 s35, s34, 31
	v_add_co_u32 v42, vcc_lo, v0, 8
	v_add_co_ci_u32_e64 v43, null, 0, v1, vcc_lo
	s_lshl_b64 s[28:29], s[34:35], 4
	s_branch .LBB37_3
.LBB37_2:                               ;   in Loop: Header=BB37_3 Depth=1
	s_or_b32 exec_lo, exec_lo, s48
	v_add_co_u32 v40, vcc_lo, v40, s34
	v_add_co_ci_u32_e64 v41, null, s35, v41, vcc_lo
	v_sub_co_u32 v44, vcc_lo, v44, s34
	global_store_dwordx4 v[42:43], v[0:3], off offset:-8
	v_subrev_co_ci_u32_e64 v45, null, s35, v45, vcc_lo
	v_cmp_le_i32_e32 vcc_lo, s21, v40
	v_add_co_u32 v42, s4, v42, s28
	v_add_co_ci_u32_e64 v43, null, s29, v43, s4
	s_or_b32 s33, vcc_lo, s33
	s_andn2_b32 exec_lo, exec_lo, s33
	s_cbranch_execz .LBB37_7
.LBB37_3:                               ; =>This Inner Loop Header: Depth=1
                                        ; implicit-def: $vgpr0_vgpr1
	s_mov_b32 s4, exec_lo
	v_cmpx_le_i64_e64 s[22:23], v[40:41]
	s_xor_b32 s48, exec_lo, s4
	s_cbranch_execz .LBB37_5
; %bb.4:                                ;   in Loop: Header=BB37_3 Depth=1
	v_cvt_f64_i32_e32 v[0:1], v45
	v_cvt_f64_u32_e32 v[2:3], v44
	s_getpc_b64 s[4:5]
	s_add_u32 s4, s4, _ZN16c10_complex_math3powIdEEN3c107complexIT_EERKS4_S6_@rel32@lo+4
	s_addc_u32 s5, s5, _ZN16c10_complex_math3powIdEEN3c107complexIT_EERKS4_S6_@rel32@hi+12
	v_ldexp_f64 v[0:1], v[0:1], 32
	v_add_f64 v[0:1], v[0:1], v[2:3]
	v_mov_b32_e32 v2, s26
	v_mov_b32_e32 v3, s27
	v_fma_f64 v[4:5], -s[44:45], v[0:1], s[40:41]
	v_fma_f64 v[6:7], -s[46:47], v[0:1], s[42:43]
	v_mov_b32_e32 v0, s24
	v_mov_b32_e32 v1, s25
	s_swappc_b64 s[30:31], s[4:5]
.LBB37_5:                               ;   in Loop: Header=BB37_3 Depth=1
	s_andn2_saveexec_b32 s48, s48
	s_cbranch_execz .LBB37_2
; %bb.6:                                ;   in Loop: Header=BB37_3 Depth=1
	v_cvt_f64_i32_e32 v[0:1], v40
	v_mov_b32_e32 v2, s26
	v_mov_b32_e32 v3, s27
	s_getpc_b64 s[4:5]
	s_add_u32 s4, s4, _ZN16c10_complex_math3powIdEEN3c107complexIT_EERKS4_S6_@rel32@lo+4
	s_addc_u32 s5, s5, _ZN16c10_complex_math3powIdEEN3c107complexIT_EERKS4_S6_@rel32@hi+12
	v_fma_f64 v[4:5], s[44:45], v[0:1], s[36:37]
	v_fma_f64 v[6:7], s[46:47], v[0:1], s[38:39]
	v_mov_b32_e32 v0, s24
	v_mov_b32_e32 v1, s25
	s_swappc_b64 s[30:31], s[4:5]
	s_branch .LBB37_2
.LBB37_7:
	s_endpgm
	.section	.rodata,"a",@progbits
	.p2align	6, 0x0
	.amdhsa_kernel _ZN12_GLOBAL__N_141elementwise_kernel_with_index_grid_strideIiZZZN2at6native17logspace_cuda_outERKN3c106ScalarES6_ldRNS1_6TensorEENKUlvE0_clEvENKUlvE1_clEvEUllE_EEvT_T0_PN15function_traitsISD_E11result_typeE
		.amdhsa_group_segment_fixed_size 0
		.amdhsa_private_segment_fixed_size 0
		.amdhsa_kernarg_size 376
		.amdhsa_user_sgpr_count 6
		.amdhsa_user_sgpr_private_segment_buffer 1
		.amdhsa_user_sgpr_dispatch_ptr 0
		.amdhsa_user_sgpr_queue_ptr 0
		.amdhsa_user_sgpr_kernarg_segment_ptr 1
		.amdhsa_user_sgpr_dispatch_id 0
		.amdhsa_user_sgpr_flat_scratch_init 0
		.amdhsa_user_sgpr_private_segment_size 0
		.amdhsa_wavefront_size32 1
		.amdhsa_uses_dynamic_stack 0
		.amdhsa_system_sgpr_private_segment_wavefront_offset 0
		.amdhsa_system_sgpr_workgroup_id_x 1
		.amdhsa_system_sgpr_workgroup_id_y 0
		.amdhsa_system_sgpr_workgroup_id_z 0
		.amdhsa_system_sgpr_workgroup_info 0
		.amdhsa_system_vgpr_workitem_id 0
		.amdhsa_next_free_vgpr 68
		.amdhsa_next_free_sgpr 49
		.amdhsa_reserve_vcc 1
		.amdhsa_reserve_flat_scratch 0
		.amdhsa_float_round_mode_32 0
		.amdhsa_float_round_mode_16_64 0
		.amdhsa_float_denorm_mode_32 3
		.amdhsa_float_denorm_mode_16_64 3
		.amdhsa_dx10_clamp 1
		.amdhsa_ieee_mode 1
		.amdhsa_fp16_overflow 0
		.amdhsa_workgroup_processor_mode 1
		.amdhsa_memory_ordered 1
		.amdhsa_forward_progress 1
		.amdhsa_shared_vgpr_count 0
		.amdhsa_exception_fp_ieee_invalid_op 0
		.amdhsa_exception_fp_denorm_src 0
		.amdhsa_exception_fp_ieee_div_zero 0
		.amdhsa_exception_fp_ieee_overflow 0
		.amdhsa_exception_fp_ieee_underflow 0
		.amdhsa_exception_fp_ieee_inexact 0
		.amdhsa_exception_int_div_zero 0
	.end_amdhsa_kernel
	.section	.text._ZN12_GLOBAL__N_141elementwise_kernel_with_index_grid_strideIiZZZN2at6native17logspace_cuda_outERKN3c106ScalarES6_ldRNS1_6TensorEENKUlvE0_clEvENKUlvE1_clEvEUllE_EEvT_T0_PN15function_traitsISD_E11result_typeE,"axG",@progbits,_ZN12_GLOBAL__N_141elementwise_kernel_with_index_grid_strideIiZZZN2at6native17logspace_cuda_outERKN3c106ScalarES6_ldRNS1_6TensorEENKUlvE0_clEvENKUlvE1_clEvEUllE_EEvT_T0_PN15function_traitsISD_E11result_typeE,comdat
.Lfunc_end37:
	.size	_ZN12_GLOBAL__N_141elementwise_kernel_with_index_grid_strideIiZZZN2at6native17logspace_cuda_outERKN3c106ScalarES6_ldRNS1_6TensorEENKUlvE0_clEvENKUlvE1_clEvEUllE_EEvT_T0_PN15function_traitsISD_E11result_typeE, .Lfunc_end37-_ZN12_GLOBAL__N_141elementwise_kernel_with_index_grid_strideIiZZZN2at6native17logspace_cuda_outERKN3c106ScalarES6_ldRNS1_6TensorEENKUlvE0_clEvENKUlvE1_clEvEUllE_EEvT_T0_PN15function_traitsISD_E11result_typeE
                                        ; -- End function
	.set _ZN12_GLOBAL__N_141elementwise_kernel_with_index_grid_strideIiZZZN2at6native17logspace_cuda_outERKN3c106ScalarES6_ldRNS1_6TensorEENKUlvE0_clEvENKUlvE1_clEvEUllE_EEvT_T0_PN15function_traitsISD_E11result_typeE.num_vgpr, max(46, .L_ZN16c10_complex_math3powIdEEN3c107complexIT_EERKS4_S6_.num_vgpr)
	.set _ZN12_GLOBAL__N_141elementwise_kernel_with_index_grid_strideIiZZZN2at6native17logspace_cuda_outERKN3c106ScalarES6_ldRNS1_6TensorEENKUlvE0_clEvENKUlvE1_clEvEUllE_EEvT_T0_PN15function_traitsISD_E11result_typeE.num_agpr, max(0, .L_ZN16c10_complex_math3powIdEEN3c107complexIT_EERKS4_S6_.num_agpr)
	.set _ZN12_GLOBAL__N_141elementwise_kernel_with_index_grid_strideIiZZZN2at6native17logspace_cuda_outERKN3c106ScalarES6_ldRNS1_6TensorEENKUlvE0_clEvENKUlvE1_clEvEUllE_EEvT_T0_PN15function_traitsISD_E11result_typeE.numbered_sgpr, max(49, .L_ZN16c10_complex_math3powIdEEN3c107complexIT_EERKS4_S6_.numbered_sgpr)
	.set _ZN12_GLOBAL__N_141elementwise_kernel_with_index_grid_strideIiZZZN2at6native17logspace_cuda_outERKN3c106ScalarES6_ldRNS1_6TensorEENKUlvE0_clEvENKUlvE1_clEvEUllE_EEvT_T0_PN15function_traitsISD_E11result_typeE.num_named_barrier, max(0, .L_ZN16c10_complex_math3powIdEEN3c107complexIT_EERKS4_S6_.num_named_barrier)
	.set _ZN12_GLOBAL__N_141elementwise_kernel_with_index_grid_strideIiZZZN2at6native17logspace_cuda_outERKN3c106ScalarES6_ldRNS1_6TensorEENKUlvE0_clEvENKUlvE1_clEvEUllE_EEvT_T0_PN15function_traitsISD_E11result_typeE.private_seg_size, 0+max(.L_ZN16c10_complex_math3powIdEEN3c107complexIT_EERKS4_S6_.private_seg_size)
	.set _ZN12_GLOBAL__N_141elementwise_kernel_with_index_grid_strideIiZZZN2at6native17logspace_cuda_outERKN3c106ScalarES6_ldRNS1_6TensorEENKUlvE0_clEvENKUlvE1_clEvEUllE_EEvT_T0_PN15function_traitsISD_E11result_typeE.uses_vcc, or(1, .L_ZN16c10_complex_math3powIdEEN3c107complexIT_EERKS4_S6_.uses_vcc)
	.set _ZN12_GLOBAL__N_141elementwise_kernel_with_index_grid_strideIiZZZN2at6native17logspace_cuda_outERKN3c106ScalarES6_ldRNS1_6TensorEENKUlvE0_clEvENKUlvE1_clEvEUllE_EEvT_T0_PN15function_traitsISD_E11result_typeE.uses_flat_scratch, or(0, .L_ZN16c10_complex_math3powIdEEN3c107complexIT_EERKS4_S6_.uses_flat_scratch)
	.set _ZN12_GLOBAL__N_141elementwise_kernel_with_index_grid_strideIiZZZN2at6native17logspace_cuda_outERKN3c106ScalarES6_ldRNS1_6TensorEENKUlvE0_clEvENKUlvE1_clEvEUllE_EEvT_T0_PN15function_traitsISD_E11result_typeE.has_dyn_sized_stack, or(0, .L_ZN16c10_complex_math3powIdEEN3c107complexIT_EERKS4_S6_.has_dyn_sized_stack)
	.set _ZN12_GLOBAL__N_141elementwise_kernel_with_index_grid_strideIiZZZN2at6native17logspace_cuda_outERKN3c106ScalarES6_ldRNS1_6TensorEENKUlvE0_clEvENKUlvE1_clEvEUllE_EEvT_T0_PN15function_traitsISD_E11result_typeE.has_recursion, or(0, .L_ZN16c10_complex_math3powIdEEN3c107complexIT_EERKS4_S6_.has_recursion)
	.set _ZN12_GLOBAL__N_141elementwise_kernel_with_index_grid_strideIiZZZN2at6native17logspace_cuda_outERKN3c106ScalarES6_ldRNS1_6TensorEENKUlvE0_clEvENKUlvE1_clEvEUllE_EEvT_T0_PN15function_traitsISD_E11result_typeE.has_indirect_call, or(0, .L_ZN16c10_complex_math3powIdEEN3c107complexIT_EERKS4_S6_.has_indirect_call)
	.section	.AMDGPU.csdata,"",@progbits
; Kernel info:
; codeLenInByte = 480
; TotalNumSgprs: 51
; NumVgprs: 68
; ScratchSize: 0
; MemoryBound: 0
; FloatMode: 240
; IeeeMode: 1
; LDSByteSize: 0 bytes/workgroup (compile time only)
; SGPRBlocks: 0
; VGPRBlocks: 8
; NumSGPRsForWavesPerEU: 51
; NumVGPRsForWavesPerEU: 68
; Occupancy: 12
; WaveLimiterHint : 1
; COMPUTE_PGM_RSRC2:SCRATCH_EN: 0
; COMPUTE_PGM_RSRC2:USER_SGPR: 6
; COMPUTE_PGM_RSRC2:TRAP_HANDLER: 0
; COMPUTE_PGM_RSRC2:TGID_X_EN: 1
; COMPUTE_PGM_RSRC2:TGID_Y_EN: 0
; COMPUTE_PGM_RSRC2:TGID_Z_EN: 0
; COMPUTE_PGM_RSRC2:TIDIG_COMP_CNT: 0
	.section	.text._ZN12_GLOBAL__N_141elementwise_kernel_with_index_grid_strideIlZZZN2at6native17logspace_cuda_outERKN3c106ScalarES6_ldRNS1_6TensorEENKUlvE0_clEvENKUlvE1_clEvEUllE_EEvT_T0_PN15function_traitsISD_E11result_typeE,"axG",@progbits,_ZN12_GLOBAL__N_141elementwise_kernel_with_index_grid_strideIlZZZN2at6native17logspace_cuda_outERKN3c106ScalarES6_ldRNS1_6TensorEENKUlvE0_clEvENKUlvE1_clEvEUllE_EEvT_T0_PN15function_traitsISD_E11result_typeE,comdat
	.globl	_ZN12_GLOBAL__N_141elementwise_kernel_with_index_grid_strideIlZZZN2at6native17logspace_cuda_outERKN3c106ScalarES6_ldRNS1_6TensorEENKUlvE0_clEvENKUlvE1_clEvEUllE_EEvT_T0_PN15function_traitsISD_E11result_typeE ; -- Begin function _ZN12_GLOBAL__N_141elementwise_kernel_with_index_grid_strideIlZZZN2at6native17logspace_cuda_outERKN3c106ScalarES6_ldRNS1_6TensorEENKUlvE0_clEvENKUlvE1_clEvEUllE_EEvT_T0_PN15function_traitsISD_E11result_typeE
	.p2align	8
	.type	_ZN12_GLOBAL__N_141elementwise_kernel_with_index_grid_strideIlZZZN2at6native17logspace_cuda_outERKN3c106ScalarES6_ldRNS1_6TensorEENKUlvE0_clEvENKUlvE1_clEvEUllE_EEvT_T0_PN15function_traitsISD_E11result_typeE,@function
_ZN12_GLOBAL__N_141elementwise_kernel_with_index_grid_strideIlZZZN2at6native17logspace_cuda_outERKN3c106ScalarES6_ldRNS1_6TensorEENKUlvE0_clEvENKUlvE1_clEvEUllE_EEvT_T0_PN15function_traitsISD_E11result_typeE: ; @_ZN12_GLOBAL__N_141elementwise_kernel_with_index_grid_strideIlZZZN2at6native17logspace_cuda_outERKN3c106ScalarES6_ldRNS1_6TensorEENKUlvE0_clEvENKUlvE1_clEvEUllE_EEvT_T0_PN15function_traitsISD_E11result_typeE
; %bb.0:
	s_add_u32 s0, s0, s7
	s_clause 0x1
	s_load_dword s7, s[4:5], 0x84
	s_load_dwordx2 s[22:23], s[4:5], 0x0
	v_mov_b32_e32 v1, 0
	s_addc_u32 s1, s1, 0
	s_add_u32 s8, s4, 0x78
	s_addc_u32 s9, s5, 0
	s_mov_b32 s32, 0
	s_waitcnt lgkmcnt(0)
	s_and_b32 s7, s7, 0xffff
	v_mad_u64_u32 v[40:41], null, s7, s6, v[0:1]
	s_mov_b32 s6, exec_lo
	v_cmpx_gt_i64_e64 s[22:23], v[40:41]
	s_cbranch_execz .LBB38_7
; %bb.1:
	s_load_dword s6, s[8:9], 0x0
	s_clause 0x4
	s_load_dwordx2 s[8:9], s[4:5], 0x70
	s_load_dwordx8 s[24:31], s[4:5], 0x30
	s_load_dwordx8 s[36:43], s[4:5], 0x10
	s_load_dwordx2 s[34:35], s[4:5], 0x60
	s_load_dwordx4 s[44:47], s[4:5], 0x50
	v_lshlrev_b64 v[0:1], 4, v[40:41]
	v_not_b32_e32 v3, v40
	v_not_b32_e32 v2, v41
	s_mov_b32 s21, 0
	s_waitcnt lgkmcnt(0)
	s_mul_hi_u32 s49, s7, s6
	v_add_co_u32 v0, vcc_lo, s8, v0
	v_add_co_ci_u32_e64 v1, null, s9, v1, vcc_lo
	v_add_co_u32 v44, vcc_lo, v3, s28
	v_add_co_ci_u32_e64 v45, null, s29, v2, vcc_lo
	;; [unrolled: 2-line block ×3, first 2 shown]
	s_mul_i32 s48, s7, s6
	s_lshl_b64 s[28:29], s[48:49], 4
	s_branch .LBB38_3
.LBB38_2:                               ;   in Loop: Header=BB38_3 Depth=1
	s_or_b32 exec_lo, exec_lo, s33
	v_add_co_u32 v40, vcc_lo, v40, s48
	v_add_co_ci_u32_e64 v41, null, s49, v41, vcc_lo
	v_sub_co_u32 v44, vcc_lo, v44, s48
	v_subrev_co_ci_u32_e64 v45, null, s49, v45, vcc_lo
	v_cmp_le_i64_e32 vcc_lo, s[22:23], v[40:41]
	global_store_dwordx4 v[42:43], v[0:3], off offset:-8
	v_add_co_u32 v42, s4, v42, s28
	v_add_co_ci_u32_e64 v43, null, s29, v43, s4
	s_or_b32 s21, vcc_lo, s21
	s_andn2_b32 exec_lo, exec_lo, s21
	s_cbranch_execz .LBB38_7
.LBB38_3:                               ; =>This Inner Loop Header: Depth=1
                                        ; implicit-def: $vgpr0_vgpr1
	s_mov_b32 s4, exec_lo
	v_cmpx_le_i64_e64 s[34:35], v[40:41]
	s_xor_b32 s33, exec_lo, s4
	s_cbranch_execz .LBB38_5
; %bb.4:                                ;   in Loop: Header=BB38_3 Depth=1
	v_cvt_f64_i32_e32 v[0:1], v45
	v_cvt_f64_u32_e32 v[2:3], v44
	s_getpc_b64 s[4:5]
	s_add_u32 s4, s4, _ZN16c10_complex_math3powIdEEN3c107complexIT_EERKS4_S6_@rel32@lo+4
	s_addc_u32 s5, s5, _ZN16c10_complex_math3powIdEEN3c107complexIT_EERKS4_S6_@rel32@hi+12
	v_ldexp_f64 v[0:1], v[0:1], 32
	v_add_f64 v[0:1], v[0:1], v[2:3]
	v_mov_b32_e32 v2, s26
	v_mov_b32_e32 v3, s27
	v_fma_f64 v[4:5], -s[44:45], v[0:1], s[40:41]
	v_fma_f64 v[6:7], -s[46:47], v[0:1], s[42:43]
	v_mov_b32_e32 v0, s24
	v_mov_b32_e32 v1, s25
	s_swappc_b64 s[30:31], s[4:5]
.LBB38_5:                               ;   in Loop: Header=BB38_3 Depth=1
	s_andn2_saveexec_b32 s33, s33
	s_cbranch_execz .LBB38_2
; %bb.6:                                ;   in Loop: Header=BB38_3 Depth=1
	v_cvt_f64_u32_e32 v[0:1], v41
	v_cvt_f64_u32_e32 v[2:3], v40
	s_getpc_b64 s[4:5]
	s_add_u32 s4, s4, _ZN16c10_complex_math3powIdEEN3c107complexIT_EERKS4_S6_@rel32@lo+4
	s_addc_u32 s5, s5, _ZN16c10_complex_math3powIdEEN3c107complexIT_EERKS4_S6_@rel32@hi+12
	v_ldexp_f64 v[0:1], v[0:1], 32
	v_add_f64 v[0:1], v[0:1], v[2:3]
	v_mov_b32_e32 v2, s26
	v_mov_b32_e32 v3, s27
	v_fma_f64 v[4:5], s[44:45], v[0:1], s[36:37]
	v_fma_f64 v[6:7], s[46:47], v[0:1], s[38:39]
	v_mov_b32_e32 v0, s24
	v_mov_b32_e32 v1, s25
	s_swappc_b64 s[30:31], s[4:5]
	s_branch .LBB38_2
.LBB38_7:
	s_endpgm
	.section	.rodata,"a",@progbits
	.p2align	6, 0x0
	.amdhsa_kernel _ZN12_GLOBAL__N_141elementwise_kernel_with_index_grid_strideIlZZZN2at6native17logspace_cuda_outERKN3c106ScalarES6_ldRNS1_6TensorEENKUlvE0_clEvENKUlvE1_clEvEUllE_EEvT_T0_PN15function_traitsISD_E11result_typeE
		.amdhsa_group_segment_fixed_size 0
		.amdhsa_private_segment_fixed_size 0
		.amdhsa_kernarg_size 376
		.amdhsa_user_sgpr_count 6
		.amdhsa_user_sgpr_private_segment_buffer 1
		.amdhsa_user_sgpr_dispatch_ptr 0
		.amdhsa_user_sgpr_queue_ptr 0
		.amdhsa_user_sgpr_kernarg_segment_ptr 1
		.amdhsa_user_sgpr_dispatch_id 0
		.amdhsa_user_sgpr_flat_scratch_init 0
		.amdhsa_user_sgpr_private_segment_size 0
		.amdhsa_wavefront_size32 1
		.amdhsa_uses_dynamic_stack 0
		.amdhsa_system_sgpr_private_segment_wavefront_offset 0
		.amdhsa_system_sgpr_workgroup_id_x 1
		.amdhsa_system_sgpr_workgroup_id_y 0
		.amdhsa_system_sgpr_workgroup_id_z 0
		.amdhsa_system_sgpr_workgroup_info 0
		.amdhsa_system_vgpr_workitem_id 0
		.amdhsa_next_free_vgpr 68
		.amdhsa_next_free_sgpr 50
		.amdhsa_reserve_vcc 1
		.amdhsa_reserve_flat_scratch 0
		.amdhsa_float_round_mode_32 0
		.amdhsa_float_round_mode_16_64 0
		.amdhsa_float_denorm_mode_32 3
		.amdhsa_float_denorm_mode_16_64 3
		.amdhsa_dx10_clamp 1
		.amdhsa_ieee_mode 1
		.amdhsa_fp16_overflow 0
		.amdhsa_workgroup_processor_mode 1
		.amdhsa_memory_ordered 1
		.amdhsa_forward_progress 1
		.amdhsa_shared_vgpr_count 0
		.amdhsa_exception_fp_ieee_invalid_op 0
		.amdhsa_exception_fp_denorm_src 0
		.amdhsa_exception_fp_ieee_div_zero 0
		.amdhsa_exception_fp_ieee_overflow 0
		.amdhsa_exception_fp_ieee_underflow 0
		.amdhsa_exception_fp_ieee_inexact 0
		.amdhsa_exception_int_div_zero 0
	.end_amdhsa_kernel
	.section	.text._ZN12_GLOBAL__N_141elementwise_kernel_with_index_grid_strideIlZZZN2at6native17logspace_cuda_outERKN3c106ScalarES6_ldRNS1_6TensorEENKUlvE0_clEvENKUlvE1_clEvEUllE_EEvT_T0_PN15function_traitsISD_E11result_typeE,"axG",@progbits,_ZN12_GLOBAL__N_141elementwise_kernel_with_index_grid_strideIlZZZN2at6native17logspace_cuda_outERKN3c106ScalarES6_ldRNS1_6TensorEENKUlvE0_clEvENKUlvE1_clEvEUllE_EEvT_T0_PN15function_traitsISD_E11result_typeE,comdat
.Lfunc_end38:
	.size	_ZN12_GLOBAL__N_141elementwise_kernel_with_index_grid_strideIlZZZN2at6native17logspace_cuda_outERKN3c106ScalarES6_ldRNS1_6TensorEENKUlvE0_clEvENKUlvE1_clEvEUllE_EEvT_T0_PN15function_traitsISD_E11result_typeE, .Lfunc_end38-_ZN12_GLOBAL__N_141elementwise_kernel_with_index_grid_strideIlZZZN2at6native17logspace_cuda_outERKN3c106ScalarES6_ldRNS1_6TensorEENKUlvE0_clEvENKUlvE1_clEvEUllE_EEvT_T0_PN15function_traitsISD_E11result_typeE
                                        ; -- End function
	.set _ZN12_GLOBAL__N_141elementwise_kernel_with_index_grid_strideIlZZZN2at6native17logspace_cuda_outERKN3c106ScalarES6_ldRNS1_6TensorEENKUlvE0_clEvENKUlvE1_clEvEUllE_EEvT_T0_PN15function_traitsISD_E11result_typeE.num_vgpr, max(46, .L_ZN16c10_complex_math3powIdEEN3c107complexIT_EERKS4_S6_.num_vgpr)
	.set _ZN12_GLOBAL__N_141elementwise_kernel_with_index_grid_strideIlZZZN2at6native17logspace_cuda_outERKN3c106ScalarES6_ldRNS1_6TensorEENKUlvE0_clEvENKUlvE1_clEvEUllE_EEvT_T0_PN15function_traitsISD_E11result_typeE.num_agpr, max(0, .L_ZN16c10_complex_math3powIdEEN3c107complexIT_EERKS4_S6_.num_agpr)
	.set _ZN12_GLOBAL__N_141elementwise_kernel_with_index_grid_strideIlZZZN2at6native17logspace_cuda_outERKN3c106ScalarES6_ldRNS1_6TensorEENKUlvE0_clEvENKUlvE1_clEvEUllE_EEvT_T0_PN15function_traitsISD_E11result_typeE.numbered_sgpr, max(50, .L_ZN16c10_complex_math3powIdEEN3c107complexIT_EERKS4_S6_.numbered_sgpr)
	.set _ZN12_GLOBAL__N_141elementwise_kernel_with_index_grid_strideIlZZZN2at6native17logspace_cuda_outERKN3c106ScalarES6_ldRNS1_6TensorEENKUlvE0_clEvENKUlvE1_clEvEUllE_EEvT_T0_PN15function_traitsISD_E11result_typeE.num_named_barrier, max(0, .L_ZN16c10_complex_math3powIdEEN3c107complexIT_EERKS4_S6_.num_named_barrier)
	.set _ZN12_GLOBAL__N_141elementwise_kernel_with_index_grid_strideIlZZZN2at6native17logspace_cuda_outERKN3c106ScalarES6_ldRNS1_6TensorEENKUlvE0_clEvENKUlvE1_clEvEUllE_EEvT_T0_PN15function_traitsISD_E11result_typeE.private_seg_size, 0+max(.L_ZN16c10_complex_math3powIdEEN3c107complexIT_EERKS4_S6_.private_seg_size)
	.set _ZN12_GLOBAL__N_141elementwise_kernel_with_index_grid_strideIlZZZN2at6native17logspace_cuda_outERKN3c106ScalarES6_ldRNS1_6TensorEENKUlvE0_clEvENKUlvE1_clEvEUllE_EEvT_T0_PN15function_traitsISD_E11result_typeE.uses_vcc, or(1, .L_ZN16c10_complex_math3powIdEEN3c107complexIT_EERKS4_S6_.uses_vcc)
	.set _ZN12_GLOBAL__N_141elementwise_kernel_with_index_grid_strideIlZZZN2at6native17logspace_cuda_outERKN3c106ScalarES6_ldRNS1_6TensorEENKUlvE0_clEvENKUlvE1_clEvEUllE_EEvT_T0_PN15function_traitsISD_E11result_typeE.uses_flat_scratch, or(0, .L_ZN16c10_complex_math3powIdEEN3c107complexIT_EERKS4_S6_.uses_flat_scratch)
	.set _ZN12_GLOBAL__N_141elementwise_kernel_with_index_grid_strideIlZZZN2at6native17logspace_cuda_outERKN3c106ScalarES6_ldRNS1_6TensorEENKUlvE0_clEvENKUlvE1_clEvEUllE_EEvT_T0_PN15function_traitsISD_E11result_typeE.has_dyn_sized_stack, or(0, .L_ZN16c10_complex_math3powIdEEN3c107complexIT_EERKS4_S6_.has_dyn_sized_stack)
	.set _ZN12_GLOBAL__N_141elementwise_kernel_with_index_grid_strideIlZZZN2at6native17logspace_cuda_outERKN3c106ScalarES6_ldRNS1_6TensorEENKUlvE0_clEvENKUlvE1_clEvEUllE_EEvT_T0_PN15function_traitsISD_E11result_typeE.has_recursion, or(0, .L_ZN16c10_complex_math3powIdEEN3c107complexIT_EERKS4_S6_.has_recursion)
	.set _ZN12_GLOBAL__N_141elementwise_kernel_with_index_grid_strideIlZZZN2at6native17logspace_cuda_outERKN3c106ScalarES6_ldRNS1_6TensorEENKUlvE0_clEvENKUlvE1_clEvEUllE_EEvT_T0_PN15function_traitsISD_E11result_typeE.has_indirect_call, or(0, .L_ZN16c10_complex_math3powIdEEN3c107complexIT_EERKS4_S6_.has_indirect_call)
	.section	.AMDGPU.csdata,"",@progbits
; Kernel info:
; codeLenInByte = 496
; TotalNumSgprs: 52
; NumVgprs: 68
; ScratchSize: 0
; MemoryBound: 0
; FloatMode: 240
; IeeeMode: 1
; LDSByteSize: 0 bytes/workgroup (compile time only)
; SGPRBlocks: 0
; VGPRBlocks: 8
; NumSGPRsForWavesPerEU: 52
; NumVGPRsForWavesPerEU: 68
; Occupancy: 12
; WaveLimiterHint : 1
; COMPUTE_PGM_RSRC2:SCRATCH_EN: 0
; COMPUTE_PGM_RSRC2:USER_SGPR: 6
; COMPUTE_PGM_RSRC2:TRAP_HANDLER: 0
; COMPUTE_PGM_RSRC2:TGID_X_EN: 1
; COMPUTE_PGM_RSRC2:TGID_Y_EN: 0
; COMPUTE_PGM_RSRC2:TGID_Z_EN: 0
; COMPUTE_PGM_RSRC2:TIDIG_COMP_CNT: 0
	.text
	.p2align	2                               ; -- Begin function _ZN16c10_complex_math3powIfEEN3c107complexIT_EERKS4_S6_
	.type	_ZN16c10_complex_math3powIfEEN3c107complexIT_EERKS4_S6_,@function
_ZN16c10_complex_math3powIfEEN3c107complexIT_EERKS4_S6_: ; @_ZN16c10_complex_math3powIfEEN3c107complexIT_EERKS4_S6_
; %bb.0:
                                        ; implicit-def: $vgpr5
                                        ; implicit-def: $vgpr4
	s_waitcnt vmcnt(0) expcnt(0) lgkmcnt(0)
	s_mov_b32 s4, exec_lo
	v_cmpx_o_f32_e32 v0, v1
	s_xor_b32 s11, exec_lo, s4
	s_cbranch_execz .LBB39_28
; %bb.1:
	v_cmp_lt_f32_e64 s4, |v0|, |v1|
                                        ; implicit-def: $vgpr5
                                        ; implicit-def: $vgpr4
	s_mov_b32 s5, exec_lo
	v_cndmask_b32_e64 v6, |v1|, |v0|, s4
	v_cmpx_nlt_f32_e32 0x77f684df, v6
	s_xor_b32 s12, exec_lo, s5
	s_cbranch_execz .LBB39_25
; %bb.2:
	v_and_b32_e32 v4, 0x7fffffff, v1
                                        ; implicit-def: $vgpr5
	s_mov_b32 s5, exec_lo
	v_cndmask_b32_e64 v7, |v0|, v4, s4
                                        ; implicit-def: $vgpr4
	v_cmpx_neq_f32_e32 1.0, v7
	s_xor_b32 s13, exec_lo, s5
	s_cbranch_execz .LBB39_18
; %bb.3:
	v_max_f32_e32 v4, v6, v6
	v_max_f32_e32 v5, v7, v7
	v_min_f32_e32 v8, v5, v4
	v_max_f32_e32 v4, v5, v4
                                        ; implicit-def: $vgpr5
	v_cmp_ngt_f32_e32 vcc_lo, 0x358637bd, v8
	v_cmp_nlt_f32_e64 s5, 0x49742400, v4
                                        ; implicit-def: $vgpr4
	s_and_b32 s5, s5, vcc_lo
	s_and_saveexec_b32 s6, s5
	s_xor_b32 s14, exec_lo, s6
	s_cbranch_execz .LBB39_15
; %bb.4:
                                        ; implicit-def: $vgpr5
                                        ; implicit-def: $vgpr4
	s_mov_b32 s5, exec_lo
	v_cmpx_le_f32_e32 1.0, v7
	s_xor_b32 s6, exec_lo, s5
	s_cbranch_execz .LBB39_6
; %bb.5:
	v_add_f32_e32 v4, -1.0, v7
	v_add_f32_e32 v5, 1.0, v7
	s_mov_b32 s5, 0x3e9b6dac
	v_cmp_class_f32_e64 s7, v0, 0x204
	v_mul_f32_e32 v7, v4, v5
	v_fmac_f32_e32 v7, v6, v6
	v_add_f32_e32 v6, 1.0, v7
	v_cvt_f64_f32_e32 v[4:5], v6
	v_frexp_exp_i32_f64_e32 v4, v[4:5]
	v_frexp_mant_f32_e32 v5, v6
	v_cmp_gt_f32_e32 vcc_lo, 0x3f2aaaab, v5
	v_add_f32_e32 v5, -1.0, v6
	v_sub_f32_e32 v9, v5, v6
	v_sub_f32_e32 v5, v7, v5
	v_add_f32_e32 v9, 1.0, v9
	v_add_f32_e32 v5, v5, v9
	v_subrev_co_ci_u32_e64 v4, null, 0, v4, vcc_lo
	v_cmp_neq_f32_e32 vcc_lo, 0x7f800000, v7
	v_sub_nc_u32_e32 v8, 0, v4
	v_cvt_f32_i32_e32 v4, v4
	v_ldexp_f32 v6, v6, v8
	v_ldexp_f32 v5, v5, v8
	v_add_f32_e32 v10, 1.0, v6
	v_add_f32_e32 v8, -1.0, v6
	v_add_f32_e32 v9, -1.0, v10
	v_add_f32_e32 v11, 1.0, v8
	v_sub_f32_e32 v9, v6, v9
	v_sub_f32_e32 v6, v6, v11
	v_add_f32_e32 v9, v5, v9
	v_add_f32_e32 v5, v5, v6
	;; [unrolled: 1-line block ×4, first 2 shown]
	v_rcp_f32_e32 v6, v11
	v_sub_f32_e32 v10, v11, v10
	v_sub_f32_e32 v8, v12, v8
	;; [unrolled: 1-line block ×4, first 2 shown]
	v_mul_f32_e32 v13, v12, v6
	v_mul_f32_e32 v14, v11, v13
	v_fma_f32 v10, v13, v11, -v14
	v_fmac_f32_e32 v10, v13, v9
	v_add_f32_e32 v15, v14, v10
	v_sub_f32_e32 v16, v12, v15
	v_sub_f32_e32 v8, v15, v14
	;; [unrolled: 1-line block ×5, first 2 shown]
	v_add_f32_e32 v5, v5, v12
	v_add_f32_e32 v5, v8, v5
	;; [unrolled: 1-line block ×3, first 2 shown]
	v_mul_f32_e32 v10, v6, v8
	v_sub_f32_e32 v15, v16, v8
	v_mul_f32_e32 v12, v11, v10
	v_add_f32_e32 v5, v5, v15
	v_fma_f32 v11, v10, v11, -v12
	v_fmac_f32_e32 v11, v10, v9
	v_add_f32_e32 v9, v12, v11
	v_sub_f32_e32 v14, v8, v9
	v_sub_f32_e32 v12, v9, v12
	;; [unrolled: 1-line block ×5, first 2 shown]
	v_max_f32_e64 v11, |v1|, |v1|
	v_add_f32_e32 v5, v5, v8
	v_add_f32_e32 v8, v13, v10
	;; [unrolled: 1-line block ×3, first 2 shown]
	v_sub_f32_e32 v9, v8, v13
	v_add_f32_e32 v5, v14, v5
	v_sub_f32_e32 v9, v10, v9
	v_mul_f32_e32 v14, 0x3f317218, v4
	v_mul_f32_e32 v5, v6, v5
	v_fma_f32 v15, 0x3f317218, v4, -v14
	v_add_f32_e32 v5, v9, v5
	v_fmamk_f32 v4, v4, 0xb102e308, v15
	v_add_f32_e32 v6, v8, v5
	v_mul_f32_e32 v9, v6, v6
	v_ldexp_f32 v13, v6, 1
	v_fmaak_f32 v10, s5, v9, 0x3ecc95a3
	v_mul_f32_e32 v12, v6, v9
	v_sub_f32_e32 v6, v6, v8
	s_mov_b32 s5, 0x3b2d2a58
	v_fmaak_f32 v9, v9, v10, 0x3f2aaada
	v_max_f32_e64 v10, |v0|, |v0|
	v_sub_f32_e32 v5, v5, v6
	v_mul_f32_e32 v9, v12, v9
	v_max_f32_e32 v12, v10, v11
	v_min_f32_e32 v10, v10, v11
	v_ldexp_f32 v5, v5, 1
	v_add_f32_e32 v8, v13, v9
	v_frexp_mant_f32_e32 v11, v12
	v_frexp_exp_i32_f32_e32 v12, v12
	v_sub_f32_e32 v6, v8, v13
	v_rcp_f32_e32 v11, v11
	v_frexp_exp_i32_f32_e32 v13, v10
	v_sub_f32_e32 v6, v9, v6
	v_frexp_mant_f32_e32 v9, v10
	v_sub_nc_u32_e32 v10, v13, v12
	v_add_f32_e32 v5, v5, v6
	v_mul_f32_e32 v6, v9, v11
	v_add_f32_e32 v9, v14, v4
	v_add_f32_e32 v11, v8, v5
	v_ldexp_f32 v6, v6, v10
	v_sub_f32_e32 v14, v9, v14
	v_add_f32_e32 v10, v9, v11
	v_mul_f32_e32 v12, v6, v6
	v_sub_f32_e32 v8, v11, v8
	v_sub_f32_e32 v4, v4, v14
	;; [unrolled: 1-line block ×3, first 2 shown]
	v_fmaak_f32 v15, s5, v12, 0xbc7a590c
	v_sub_f32_e32 v5, v5, v8
	v_cmp_neq_f32_e64 s5, -1.0, v7
	v_sub_f32_e32 v16, v10, v13
	v_fmaak_f32 v15, v12, v15, 0x3d29fb3f
	v_sub_f32_e32 v8, v11, v13
	v_add_f32_e32 v13, v4, v5
	v_sub_f32_e32 v9, v9, v16
	v_fmaak_f32 v11, v12, v15, 0xbd97d4d7
	v_add_f32_e32 v8, v8, v9
	v_fmaak_f32 v9, v12, v11, 0x3dd931b2
	v_sub_f32_e32 v11, v13, v4
	v_add_f32_e32 v8, v13, v8
	v_fmaak_f32 v9, v12, v9, 0xbe1160e6
	v_sub_f32_e32 v13, v13, v11
	v_sub_f32_e32 v5, v5, v11
	v_add_f32_e32 v14, v10, v8
	v_fmaak_f32 v9, v12, v9, 0x3e4cb8bf
	v_sub_f32_e32 v4, v4, v13
	v_sub_f32_e32 v10, v14, v10
	v_fmaak_f32 v9, v12, v9, 0xbeaaaa62
	v_add_f32_e32 v4, v5, v4
	v_sub_f32_e32 v5, v8, v10
	v_mul_f32_e32 v8, v12, v9
	v_add_f32_e32 v4, v4, v5
	v_fmac_f32_e32 v6, v6, v8
	v_add_f32_e32 v4, v14, v4
	v_sub_f32_e32 v5, 0x3fc90fdb, v6
	v_cndmask_b32_e32 v4, 0x7f800000, v4, vcc_lo
	v_cmp_gt_i32_e32 vcc_lo, 0, v0
	v_cndmask_b32_e64 v5, v6, v5, s4
	v_mov_b32_e32 v6, 0x4016cbe4
	v_cndmask_b32_e64 v8, 0, 0x40490fdb, vcc_lo
	v_cmp_ngt_f32_e32 vcc_lo, -1.0, v7
	v_sub_f32_e32 v9, 0x40490fdb, v5
	v_cndmask_b32_e32 v4, 0x7fc00000, v4, vcc_lo
	v_cmp_gt_f32_e32 vcc_lo, 0, v0
	v_cndmask_b32_e64 v0, 0xff800000, v4, s5
	v_cndmask_b32_e32 v4, v5, v9, vcc_lo
	v_cndmask_b32_e32 v6, 0x3f490fdb, v6, vcc_lo
	v_cmp_gt_f32_e64 vcc_lo, 0x33800000, |v7|
	v_cmp_class_f32_e64 s5, v1, 0x204
	v_cndmask_b32_e32 v0, v0, v7, vcc_lo
	v_cmp_eq_f32_e32 vcc_lo, 0, v1
                                        ; implicit-def: $vgpr7
	v_mul_f32_e32 v5, 0.5, v0
	v_cndmask_b32_e32 v4, v4, v8, vcc_lo
	s_and_b32 vcc_lo, s7, s5
                                        ; implicit-def: $vgpr0
	v_cndmask_b32_e32 v4, v4, v6, vcc_lo
                                        ; implicit-def: $vgpr6
.LBB39_6:
	s_andn2_saveexec_b32 s15, s6
	s_cbranch_execz .LBB39_14
; %bb.7:
	v_mul_f32_e32 v8, v6, v6
                                        ; implicit-def: $vgpr5
                                        ; implicit-def: $vgpr4
	s_mov_b32 s5, exec_lo
	v_fmac_f32_e32 v8, v7, v7
	v_cmpx_ge_f32_e32 0x3f333333, v8
	s_xor_b32 s6, exec_lo, s5
	s_cbranch_execz .LBB39_9
; %bb.8:
	v_max_f32_e64 v4, |v1|, |v1|
	v_max_f32_e64 v5, |v0|, |v0|
	s_mov_b32 s5, 0x3b2d2a58
	v_cmp_gt_f32_e32 vcc_lo, 0x800000, v8
	v_cmp_class_f32_e64 s7, v0, 0x204
	v_cmp_class_f32_e64 s8, v1, 0x204
	v_max_f32_e32 v6, v5, v4
	v_min_f32_e32 v4, v5, v4
	v_cndmask_b32_e64 v10, 0, 0x41b17218, vcc_lo
	v_frexp_mant_f32_e32 v7, v6
	v_frexp_exp_i32_f32_e32 v6, v6
	v_rcp_f32_e32 v5, v7
	v_frexp_exp_i32_f32_e32 v7, v4
	v_frexp_mant_f32_e32 v4, v4
	v_sub_nc_u32_e32 v6, v7, v6
	v_cndmask_b32_e64 v7, 0, 32, vcc_lo
	v_mul_f32_e32 v4, v4, v5
	v_ldexp_f32 v7, v8, v7
	v_mov_b32_e32 v8, 0x4016cbe4
	v_ldexp_f32 v4, v4, v6
	v_log_f32_e32 v7, v7
	v_mul_f32_e32 v5, v4, v4
	v_fmaak_f32 v6, s5, v5, 0xbc7a590c
	v_cmp_gt_i32_e64 s5, 0, v0
	v_cmp_gt_f32_e64 vcc_lo, 0x7f800000, |v7|
	v_fmaak_f32 v6, v5, v6, 0x3d29fb3f
	v_fmaak_f32 v6, v5, v6, 0xbd97d4d7
	;; [unrolled: 1-line block ×6, first 2 shown]
	v_mul_f32_e32 v5, v5, v6
	v_mul_f32_e32 v6, 0x3f317217, v7
	v_fmac_f32_e32 v4, v4, v5
	v_fma_f32 v5, 0x3f317217, v7, -v6
	v_sub_f32_e32 v6, 0x3fc90fdb, v4
	v_fmamk_f32 v5, v7, 0x3377d1cf, v5
	v_cndmask_b32_e64 v4, v4, v6, s4
	v_fmac_f32_e32 v5, 0x3f317217, v7
	v_cndmask_b32_e64 v6, 0, 0x40490fdb, s5
	v_cmp_eq_f32_e64 s5, 0, v1
	v_sub_f32_e32 v9, 0x40490fdb, v4
	v_cndmask_b32_e32 v5, v7, v5, vcc_lo
	v_cmp_gt_f32_e32 vcc_lo, 0, v0
                                        ; implicit-def: $vgpr7
	v_sub_f32_e32 v0, v5, v10
	v_cndmask_b32_e32 v4, v4, v9, vcc_lo
	v_mul_f32_e32 v5, 0.5, v0
	v_cndmask_b32_e64 v4, v4, v6, s5
	v_cndmask_b32_e32 v6, 0x3f490fdb, v8, vcc_lo
	s_and_b32 vcc_lo, s7, s8
                                        ; implicit-def: $vgpr0
	v_cndmask_b32_e32 v4, v4, v6, vcc_lo
                                        ; implicit-def: $vgpr6
.LBB39_9:
	s_andn2_saveexec_b32 s16, s6
	s_cbranch_execz .LBB39_13
; %bb.10:
	v_and_b32_e32 v5, 0x7fff0000, v7
	v_and_b32_e32 v8, 0x7fff0000, v6
	s_mov_b32 s17, 0
	v_sub_f32_e32 v7, v7, v5
	v_sub_f32_e32 v9, v6, v8
	v_add_f32_e32 v12, v5, v5
	v_add_f32_e32 v15, v8, v8
	v_mul_f32_e32 v6, v8, v8
	v_and_b32_e32 v10, 0xffff0000, v7
	v_and_b32_e32 v11, 0xffff0000, v9
	v_mul_f32_e32 v4, v5, v5
	v_sub_f32_e32 v8, v7, v10
	v_sub_f32_e32 v16, v9, v11
	v_add_f32_e32 v9, v10, v10
	v_add_f32_e32 v17, v11, v11
	v_mul_f32_e32 v14, v12, v10
	v_mul_f32_e32 v5, v15, v11
	;; [unrolled: 1-line block ×10, first 2 shown]
.LBB39_11:                              ; =>This Inner Loop Header: Depth=1
	v_cmp_nlt_f32_e32 vcc_lo, v4, v6
	v_mov_b32_e32 v17, v15
	v_cndmask_b32_e32 v16, v4, v6, vcc_lo
	v_cndmask_b32_e32 v4, v6, v4, vcc_lo
	v_cmp_nlt_f32_e64 s5, v16, v14
	v_cndmask_b32_e64 v15, v16, v14, s5
	v_cndmask_b32_e64 v6, v14, v16, s5
	s_and_b32 s18, vcc_lo, s5
	v_cmp_nlt_f32_e64 s6, v15, v5
	v_cndmask_b32_e64 v18, v15, v5, s6
	v_cndmask_b32_e64 v14, v5, v15, s6
	v_cmp_nlt_f32_e64 s7, v18, v7
	v_cndmask_b32_e64 v16, v18, v7, s7
	v_cndmask_b32_e64 v5, v7, v18, s7
	s_and_b32 s19, s6, s7
	v_cmp_nlt_f32_e64 s8, v16, v13
	v_cndmask_b32_e64 v19, v16, v13, s8
	v_cndmask_b32_e64 v7, v13, v16, s8
	v_cmp_nlt_f32_e64 s9, v19, v10
	v_cndmask_b32_e64 v20, v19, v10, s9
	s_and_b32 s7, s8, s9
	v_cndmask_b32_e64 v13, v10, v19, s9
	v_cmp_nlt_f32_e64 s10, v20, v12
	v_cndmask_b32_e64 v21, v20, v12, s10
	s_and_b32 s7, s7, s10
	v_cndmask_b32_e64 v10, v12, v20, s10
	v_cmp_nlt_f32_e32 vcc_lo, v21, v11
	v_cndmask_b32_e32 v22, v21, v11, vcc_lo
	s_and_b32 s8, s7, vcc_lo
	v_cndmask_b32_e32 v12, v11, v21, vcc_lo
	v_cmp_nlt_f32_e64 s5, v22, v9
	v_cndmask_b32_e64 v18, v22, v9, s5
	s_and_b32 s8, s8, s5
	v_cndmask_b32_e64 v11, v9, v22, s5
	v_cmp_nlt_f32_e64 s6, v18, v8
	v_cndmask_b32_e64 v16, v18, v8, s6
	s_and_b32 s8, s8, s6
	v_cndmask_b32_e64 v9, v8, v18, s6
	v_cmp_nlt_f32_e64 s7, v16, v17
	s_and_b32 s8, s8, s7
	v_cndmask_b32_e64 v15, v16, v17, s7
	s_and_b32 s5, s8, s19
	v_cndmask_b32_e64 v8, v17, v16, s7
	s_and_b32 s5, s5, s18
	s_and_b32 s5, exec_lo, s5
	s_or_b32 s17, s5, s17
	s_andn2_b32 exec_lo, exec_lo, s17
	s_cbranch_execnz .LBB39_11
; %bb.12:
	s_or_b32 exec_lo, exec_lo, s17
	v_add_f32_e32 v4, -1.0, v4
	s_mov_b32 s5, 0x3e9b6dac
	v_cmp_class_f32_e64 s6, v0, 0x204
	v_add_f32_e32 v4, v4, v6
	v_add_f32_e32 v4, v4, v14
	;; [unrolled: 1-line block ×11, first 2 shown]
	v_add_f32_e32 v7, 1.0, v6
	v_cvt_f64_f32_e32 v[4:5], v7
	v_frexp_exp_i32_f64_e32 v4, v[4:5]
	v_frexp_mant_f32_e32 v5, v7
	v_cmp_gt_f32_e32 vcc_lo, 0x3f2aaaab, v5
	v_add_f32_e32 v5, -1.0, v7
	v_sub_f32_e32 v9, v5, v7
	v_sub_f32_e32 v5, v6, v5
	v_add_f32_e32 v9, 1.0, v9
	v_add_f32_e32 v5, v5, v9
	v_subrev_co_ci_u32_e64 v4, null, 0, v4, vcc_lo
	v_cmp_neq_f32_e32 vcc_lo, 0x7f800000, v6
	v_sub_nc_u32_e32 v8, 0, v4
	v_cvt_f32_i32_e32 v4, v4
	v_ldexp_f32 v7, v7, v8
	v_ldexp_f32 v5, v5, v8
	v_add_f32_e32 v10, 1.0, v7
	v_add_f32_e32 v8, -1.0, v7
	v_add_f32_e32 v9, -1.0, v10
	v_add_f32_e32 v11, 1.0, v8
	v_sub_f32_e32 v9, v7, v9
	v_sub_f32_e32 v7, v7, v11
	v_add_f32_e32 v9, v5, v9
	v_add_f32_e32 v5, v5, v7
	;; [unrolled: 1-line block ×4, first 2 shown]
	v_rcp_f32_e32 v7, v11
	v_sub_f32_e32 v10, v11, v10
	v_sub_f32_e32 v8, v12, v8
	;; [unrolled: 1-line block ×4, first 2 shown]
	v_mul_f32_e32 v13, v12, v7
	v_mul_f32_e32 v14, v11, v13
	v_fma_f32 v10, v13, v11, -v14
	v_fmac_f32_e32 v10, v13, v9
	v_add_f32_e32 v15, v14, v10
	v_sub_f32_e32 v16, v12, v15
	v_sub_f32_e32 v8, v15, v14
	;; [unrolled: 1-line block ×5, first 2 shown]
	v_add_f32_e32 v5, v5, v12
	v_add_f32_e32 v5, v8, v5
	;; [unrolled: 1-line block ×3, first 2 shown]
	v_mul_f32_e32 v10, v7, v8
	v_sub_f32_e32 v15, v16, v8
	v_mul_f32_e32 v12, v11, v10
	v_add_f32_e32 v5, v5, v15
	v_fma_f32 v11, v10, v11, -v12
	v_fmac_f32_e32 v11, v10, v9
	v_add_f32_e32 v9, v12, v11
	v_sub_f32_e32 v14, v8, v9
	v_sub_f32_e32 v12, v9, v12
	;; [unrolled: 1-line block ×5, first 2 shown]
	v_max_f32_e64 v11, |v1|, |v1|
	v_add_f32_e32 v5, v5, v8
	v_add_f32_e32 v8, v13, v10
	;; [unrolled: 1-line block ×3, first 2 shown]
	v_sub_f32_e32 v9, v8, v13
	v_add_f32_e32 v5, v14, v5
	v_sub_f32_e32 v9, v10, v9
	v_mul_f32_e32 v14, 0x3f317218, v4
	v_mul_f32_e32 v5, v7, v5
	v_fma_f32 v15, 0x3f317218, v4, -v14
	v_add_f32_e32 v5, v9, v5
	v_fmamk_f32 v4, v4, 0xb102e308, v15
	v_add_f32_e32 v7, v8, v5
	v_mul_f32_e32 v9, v7, v7
	v_ldexp_f32 v13, v7, 1
	v_fmaak_f32 v10, s5, v9, 0x3ecc95a3
	v_mul_f32_e32 v12, v7, v9
	v_sub_f32_e32 v7, v7, v8
	s_mov_b32 s5, 0x3b2d2a58
	v_fmaak_f32 v9, v9, v10, 0x3f2aaada
	v_max_f32_e64 v10, |v0|, |v0|
	v_sub_f32_e32 v5, v5, v7
	v_mul_f32_e32 v9, v12, v9
	v_max_f32_e32 v12, v10, v11
	v_min_f32_e32 v10, v10, v11
	v_ldexp_f32 v5, v5, 1
	v_add_f32_e32 v8, v13, v9
	v_frexp_mant_f32_e32 v11, v12
	v_frexp_exp_i32_f32_e32 v12, v12
	v_sub_f32_e32 v7, v8, v13
	v_rcp_f32_e32 v11, v11
	v_frexp_exp_i32_f32_e32 v13, v10
	v_sub_f32_e32 v7, v9, v7
	v_frexp_mant_f32_e32 v9, v10
	v_sub_nc_u32_e32 v10, v13, v12
	v_add_f32_e32 v5, v5, v7
	v_mul_f32_e32 v7, v9, v11
	v_add_f32_e32 v9, v14, v4
	v_add_f32_e32 v11, v8, v5
	v_ldexp_f32 v7, v7, v10
	v_sub_f32_e32 v14, v9, v14
	v_add_f32_e32 v10, v9, v11
	v_mul_f32_e32 v12, v7, v7
	v_sub_f32_e32 v8, v11, v8
	v_sub_f32_e32 v4, v4, v14
	;; [unrolled: 1-line block ×3, first 2 shown]
	v_fmaak_f32 v15, s5, v12, 0xbc7a590c
	v_sub_f32_e32 v5, v5, v8
	v_cmp_neq_f32_e64 s5, -1.0, v6
	v_sub_f32_e32 v16, v10, v13
	v_fmaak_f32 v15, v12, v15, 0x3d29fb3f
	v_sub_f32_e32 v8, v11, v13
	v_add_f32_e32 v13, v4, v5
	v_sub_f32_e32 v9, v9, v16
	v_fmaak_f32 v11, v12, v15, 0xbd97d4d7
	v_add_f32_e32 v8, v8, v9
	v_fmaak_f32 v9, v12, v11, 0x3dd931b2
	v_sub_f32_e32 v11, v13, v4
	v_add_f32_e32 v8, v13, v8
	v_fmaak_f32 v9, v12, v9, 0xbe1160e6
	v_sub_f32_e32 v13, v13, v11
	v_sub_f32_e32 v5, v5, v11
	v_add_f32_e32 v14, v10, v8
	v_fmaak_f32 v9, v12, v9, 0x3e4cb8bf
	v_sub_f32_e32 v4, v4, v13
	v_sub_f32_e32 v10, v14, v10
	v_fmaak_f32 v9, v12, v9, 0xbeaaaa62
	v_add_f32_e32 v4, v5, v4
	v_sub_f32_e32 v5, v8, v10
	v_mul_f32_e32 v8, v12, v9
	v_add_f32_e32 v4, v4, v5
	v_fmac_f32_e32 v7, v7, v8
	v_add_f32_e32 v4, v14, v4
	v_sub_f32_e32 v5, 0x3fc90fdb, v7
	v_cndmask_b32_e32 v4, 0x7f800000, v4, vcc_lo
	v_cmp_gt_i32_e32 vcc_lo, 0, v0
	v_cndmask_b32_e64 v5, v7, v5, s4
	v_mov_b32_e32 v7, 0x4016cbe4
	v_cndmask_b32_e64 v8, 0, 0x40490fdb, vcc_lo
	v_cmp_ngt_f32_e32 vcc_lo, -1.0, v6
	v_sub_f32_e32 v9, 0x40490fdb, v5
	v_cndmask_b32_e32 v4, 0x7fc00000, v4, vcc_lo
	v_cmp_gt_f32_e32 vcc_lo, 0, v0
	v_cndmask_b32_e64 v0, 0xff800000, v4, s5
	v_cndmask_b32_e32 v4, v5, v9, vcc_lo
	v_cndmask_b32_e32 v7, 0x3f490fdb, v7, vcc_lo
	v_cmp_gt_f32_e64 vcc_lo, 0x33800000, |v6|
	v_cmp_class_f32_e64 s5, v1, 0x204
	v_cndmask_b32_e32 v0, v0, v6, vcc_lo
	v_cmp_eq_f32_e32 vcc_lo, 0, v1
	v_mul_f32_e32 v5, 0.5, v0
	v_cndmask_b32_e32 v4, v4, v8, vcc_lo
	s_and_b32 vcc_lo, s6, s5
	v_cndmask_b32_e32 v4, v4, v7, vcc_lo
.LBB39_13:
	s_or_b32 exec_lo, exec_lo, s16
.LBB39_14:
	s_or_b32 exec_lo, exec_lo, s15
                                        ; implicit-def: $vgpr0
.LBB39_15:
	s_andn2_saveexec_b32 s6, s14
	s_cbranch_execz .LBB39_17
; %bb.16:
	v_max_f32_e64 v6, |v1|, |v1|
	v_max_f32_e64 v7, |v0|, |v0|
	s_mov_b32 s5, 0x3b2d2a58
	v_cmp_class_f32_e64 s7, v0, 0x204
	v_cmp_class_f32_e64 s8, v1, 0x204
	v_max_f32_e32 v8, v7, v6
	v_min_f32_e32 v6, v7, v6
	v_cvt_f64_f32_e32 v[4:5], v8
	v_frexp_exp_i32_f32_e32 v7, v8
	v_frexp_exp_i32_f32_e32 v9, v6
	v_frexp_mant_f32_e32 v6, v6
	v_cmp_neq_f32_e32 vcc_lo, 0x7f800000, v8
	v_sub_nc_u32_e32 v7, v9, v7
	v_frexp_exp_i32_f64_e32 v4, v[4:5]
	v_frexp_mant_f32_e32 v5, v8
	v_mov_b32_e32 v8, 0x4016cbe4
	v_rcp_f32_e32 v5, v5
	v_mul_f32_e32 v5, v6, v5
	v_ldexp_f32 v5, v5, v7
	v_sub_nc_u32_e32 v10, 0, v4
	v_mul_f32_e32 v9, v5, v5
	v_ldexp_f32 v6, |v1|, v10
	v_ldexp_f32 v7, |v0|, v10
	v_mul_f32_e32 v6, v6, v6
	v_fmac_f32_e32 v6, v7, v7
	v_fmaak_f32 v7, s5, v9, 0xbc7a590c
	v_cmp_gt_i32_e64 s5, 0, v0
	v_sqrt_f32_e32 v6, v6
	v_fmaak_f32 v7, v9, v7, 0x3d29fb3f
	v_fmaak_f32 v7, v9, v7, 0xbd97d4d7
	v_ldexp_f32 v4, v6, v4
	v_fmaak_f32 v6, v9, v7, 0x3dd931b2
	v_cndmask_b32_e32 v4, 0x7f800000, v4, vcc_lo
	v_fmaak_f32 v6, v9, v6, 0xbe1160e6
	v_cmp_gt_f32_e32 vcc_lo, 0x800000, v4
	v_fmaak_f32 v6, v9, v6, 0x3e4cb8bf
	v_cndmask_b32_e64 v7, 0, 32, vcc_lo
	v_fmaak_f32 v6, v9, v6, 0xbeaaaa62
	v_ldexp_f32 v4, v4, v7
	v_mul_f32_e32 v6, v9, v6
	v_log_f32_e32 v4, v4
	v_fmac_f32_e32 v5, v5, v6
	v_sub_f32_e32 v7, 0x3fc90fdb, v5
	v_mul_f32_e32 v6, 0x3f317217, v4
	v_cndmask_b32_e64 v5, v5, v7, s4
	v_cndmask_b32_e64 v7, 0, 0x40490fdb, s5
	v_cmp_gt_f32_e64 s5, 0, v0
	v_cndmask_b32_e64 v0, 0, 0x41b17218, vcc_lo
	v_fma_f32 v6, 0x3f317217, v4, -v6
	v_sub_f32_e32 v9, 0x40490fdb, v5
	v_cmp_gt_f32_e64 vcc_lo, 0x7f800000, |v4|
	v_cndmask_b32_e64 v8, 0x3f490fdb, v8, s5
	v_fmamk_f32 v6, v4, 0x3377d1cf, v6
	v_cndmask_b32_e64 v5, v5, v9, s5
	v_fmac_f32_e32 v6, 0x3f317217, v4
	v_cndmask_b32_e32 v4, v4, v6, vcc_lo
	v_cmp_eq_f32_e32 vcc_lo, 0, v1
	v_cndmask_b32_e32 v6, v5, v7, vcc_lo
	s_and_b32 vcc_lo, s7, s8
	v_sub_f32_e32 v5, v4, v0
	v_cndmask_b32_e32 v4, v6, v8, vcc_lo
.LBB39_17:
	s_or_b32 exec_lo, exec_lo, s6
                                        ; implicit-def: $vgpr6
                                        ; implicit-def: $vgpr0
.LBB39_18:
	s_andn2_saveexec_b32 s6, s13
	s_cbranch_execz .LBB39_24
; %bb.19:
                                        ; implicit-def: $vgpr5
                                        ; implicit-def: $vgpr4
	s_mov_b32 s5, exec_lo
	v_cmpx_ngt_f32_e32 0x1fec1e4a, v6
	s_xor_b32 s7, exec_lo, s5
	s_cbranch_execz .LBB39_21
; %bb.20:
	v_mul_f32_e32 v6, v6, v6
	s_mov_b32 s5, 0x3e9b6dac
	v_cmp_class_f32_e64 s8, v0, 0x204
	v_add_f32_e32 v7, 1.0, v6
	v_cvt_f64_f32_e32 v[4:5], v7
	v_frexp_exp_i32_f64_e32 v4, v[4:5]
	v_frexp_mant_f32_e32 v5, v7
	v_cmp_gt_f32_e32 vcc_lo, 0x3f2aaaab, v5
	v_add_f32_e32 v5, -1.0, v7
	v_sub_f32_e32 v9, v5, v7
	v_sub_f32_e32 v5, v6, v5
	v_add_f32_e32 v9, 1.0, v9
	v_add_f32_e32 v5, v5, v9
	v_subrev_co_ci_u32_e64 v4, null, 0, v4, vcc_lo
	v_cmp_gt_i32_e32 vcc_lo, 0, v0
	v_sub_nc_u32_e32 v8, 0, v4
	v_cvt_f32_i32_e32 v4, v4
	v_ldexp_f32 v7, v7, v8
	v_ldexp_f32 v5, v5, v8
	v_add_f32_e32 v10, 1.0, v7
	v_add_f32_e32 v8, -1.0, v7
	v_add_f32_e32 v9, -1.0, v10
	v_add_f32_e32 v11, 1.0, v8
	v_sub_f32_e32 v9, v7, v9
	v_sub_f32_e32 v7, v7, v11
	v_add_f32_e32 v9, v5, v9
	v_add_f32_e32 v5, v5, v7
	;; [unrolled: 1-line block ×4, first 2 shown]
	v_rcp_f32_e32 v7, v11
	v_sub_f32_e32 v10, v10, v11
	v_sub_f32_e32 v8, v8, v12
	v_add_f32_e32 v9, v9, v10
	v_add_f32_e32 v5, v5, v8
	v_mul_f32_e32 v13, v12, v7
	v_mul_f32_e32 v14, v11, v13
	v_fma_f32 v10, v13, v11, -v14
	v_fmac_f32_e32 v10, v13, v9
	v_add_f32_e32 v15, v14, v10
	v_sub_f32_e32 v16, v12, v15
	v_sub_f32_e32 v8, v15, v14
	;; [unrolled: 1-line block ×5, first 2 shown]
	v_add_f32_e32 v5, v5, v12
	v_add_f32_e32 v5, v8, v5
	;; [unrolled: 1-line block ×3, first 2 shown]
	v_mul_f32_e32 v10, v7, v8
	v_sub_f32_e32 v15, v16, v8
	v_mul_f32_e32 v12, v11, v10
	v_add_f32_e32 v5, v5, v15
	v_fma_f32 v11, v10, v11, -v12
	v_fmac_f32_e32 v11, v10, v9
	v_add_f32_e32 v9, v12, v11
	v_sub_f32_e32 v14, v8, v9
	v_sub_f32_e32 v12, v9, v12
	;; [unrolled: 1-line block ×5, first 2 shown]
	v_max_f32_e64 v11, |v0|, |v0|
	v_add_f32_e32 v5, v5, v8
	v_add_f32_e32 v8, v13, v10
	;; [unrolled: 1-line block ×3, first 2 shown]
	v_sub_f32_e32 v9, v8, v13
	v_add_f32_e32 v5, v14, v5
	v_sub_f32_e32 v9, v10, v9
	v_mul_f32_e32 v5, v7, v5
	v_add_f32_e32 v5, v9, v5
	v_max_f32_e64 v9, |v1|, |v1|
	v_add_f32_e32 v7, v8, v5
	v_max_f32_e32 v13, v11, v9
	v_min_f32_e32 v9, v11, v9
	v_mul_f32_e32 v10, v7, v7
	v_frexp_exp_i32_f32_e32 v11, v13
	v_fmaak_f32 v12, s5, v10, 0x3ecc95a3
	v_mul_f32_e32 v14, v7, v10
	s_mov_b32 s5, 0x3b2d2a58
	v_fmaak_f32 v10, v10, v12, 0x3f2aaada
	v_frexp_mant_f32_e32 v12, v13
	v_ldexp_f32 v13, v7, 1
	v_sub_f32_e32 v7, v7, v8
	v_mul_f32_e32 v10, v14, v10
	v_rcp_f32_e32 v12, v12
	v_frexp_exp_i32_f32_e32 v14, v9
	v_frexp_mant_f32_e32 v9, v9
	v_sub_f32_e32 v5, v5, v7
	v_add_f32_e32 v8, v13, v10
	v_sub_nc_u32_e32 v11, v14, v11
	v_mul_f32_e32 v14, 0x3f317218, v4
	v_ldexp_f32 v5, v5, 1
	v_sub_f32_e32 v7, v8, v13
	v_mul_f32_e32 v9, v9, v12
	v_fma_f32 v12, 0x3f317218, v4, -v14
	v_sub_f32_e32 v7, v10, v7
	v_ldexp_f32 v9, v9, v11
	v_fmamk_f32 v4, v4, 0xb102e308, v12
	v_add_f32_e32 v5, v5, v7
	v_mul_f32_e32 v7, v9, v9
	v_add_f32_e32 v10, v14, v4
	v_add_f32_e32 v11, v8, v5
	v_fmaak_f32 v12, s5, v7, 0xbc7a590c
	v_cmp_neq_f32_e64 s5, 0x7f800000, v6
	v_sub_f32_e32 v14, v10, v14
	v_add_f32_e32 v13, v10, v11
	v_fmaak_f32 v12, v7, v12, 0x3d29fb3f
	v_sub_f32_e32 v8, v11, v8
	v_sub_f32_e32 v4, v4, v14
	v_sub_f32_e32 v15, v13, v10
	v_fmaak_f32 v12, v7, v12, 0xbd97d4d7
	v_sub_f32_e32 v5, v5, v8
	v_sub_f32_e32 v16, v13, v15
	v_fmaak_f32 v12, v7, v12, 0x3dd931b2
	v_sub_f32_e32 v8, v11, v15
	v_sub_f32_e32 v10, v10, v16
	v_fmaak_f32 v11, v7, v12, 0xbe1160e6
	v_add_f32_e32 v12, v4, v5
	v_add_f32_e32 v8, v8, v10
	v_fmaak_f32 v10, v7, v11, 0x3e4cb8bf
	v_sub_f32_e32 v11, v12, v4
	v_add_f32_e32 v8, v12, v8
	v_fmaak_f32 v10, v7, v10, 0xbeaaaa62
	v_sub_f32_e32 v12, v12, v11
	v_sub_f32_e32 v5, v5, v11
	v_add_f32_e32 v14, v13, v8
	v_mul_f32_e32 v7, v7, v10
	v_sub_f32_e32 v4, v4, v12
	v_sub_f32_e32 v10, v14, v13
	v_fmac_f32_e32 v9, v9, v7
	v_add_f32_e32 v4, v5, v4
	v_sub_f32_e32 v5, v8, v10
	v_sub_f32_e32 v7, 0x3fc90fdb, v9
	v_mov_b32_e32 v8, 0x4016cbe4
	v_add_f32_e32 v4, v4, v5
	v_cndmask_b32_e64 v5, v9, v7, s4
	v_cndmask_b32_e64 v7, 0, 0x40490fdb, vcc_lo
	v_cmp_gt_f32_e32 vcc_lo, 0, v0
	v_add_f32_e32 v4, v14, v4
	v_sub_f32_e32 v9, 0x40490fdb, v5
	v_cndmask_b32_e32 v8, 0x3f490fdb, v8, vcc_lo
	v_cndmask_b32_e64 v0, 0x7f800000, v4, s5
	v_cndmask_b32_e32 v4, v5, v9, vcc_lo
	v_cmp_gt_f32_e64 vcc_lo, 0x33800000, |v6|
	v_cmp_class_f32_e64 s5, v1, 0x204
	v_cndmask_b32_e32 v0, v0, v6, vcc_lo
	v_cmp_eq_f32_e32 vcc_lo, 0, v1
                                        ; implicit-def: $vgpr6
	v_mul_f32_e32 v5, 0.5, v0
	v_cndmask_b32_e32 v4, v4, v7, vcc_lo
	s_and_b32 vcc_lo, s8, s5
                                        ; implicit-def: $vgpr0
	v_cndmask_b32_e32 v4, v4, v8, vcc_lo
.LBB39_21:
	s_andn2_saveexec_b32 s7, s7
	s_cbranch_execz .LBB39_23
; %bb.22:
	v_max_f32_e64 v4, |v1|, |v1|
	v_max_f32_e64 v5, |v0|, |v0|
	s_mov_b32 s5, 0x3b2d2a58
	v_cmp_gt_i32_e32 vcc_lo, 0, v0
	v_cmp_class_f32_e64 s8, v0, 0x204
	v_cmp_class_f32_e64 s9, v1, 0x204
	v_max_f32_e32 v7, v5, v4
	v_min_f32_e32 v4, v5, v4
	v_frexp_mant_f32_e32 v8, v7
	v_frexp_exp_i32_f32_e32 v7, v7
	v_rcp_f32_e32 v5, v8
	v_frexp_exp_i32_f32_e32 v8, v4
	v_frexp_mant_f32_e32 v4, v4
	v_sub_nc_u32_e32 v7, v8, v7
	v_cndmask_b32_e64 v8, 0, 0x40490fdb, vcc_lo
	v_cmp_gt_f32_e32 vcc_lo, 0, v0
	v_mul_f32_e32 v4, v4, v5
	v_ldexp_f32 v4, v4, v7
	v_mul_f32_e32 v5, v4, v4
	v_fmaak_f32 v7, s5, v5, 0xbc7a590c
	v_cmp_eq_f32_e64 s5, 0, v1
	v_fmaak_f32 v7, v5, v7, 0x3d29fb3f
	v_fmaak_f32 v7, v5, v7, 0xbd97d4d7
	;; [unrolled: 1-line block ×6, first 2 shown]
	v_mul_f32_e32 v5, v5, v7
	v_mul_f32_e32 v7, 0.5, v6
	v_fmac_f32_e32 v4, v4, v5
	v_sub_f32_e32 v5, 0x3fc90fdb, v4
	v_cndmask_b32_e64 v4, v4, v5, s4
	v_sub_f32_e32 v5, 0x40490fdb, v4
	v_cndmask_b32_e32 v4, v4, v5, vcc_lo
	v_mov_b32_e32 v5, 0x4016cbe4
	v_cndmask_b32_e64 v0, v4, v8, s5
	v_cndmask_b32_e32 v4, 0x3f490fdb, v5, vcc_lo
	s_and_b32 vcc_lo, s8, s9
	v_mul_f32_e32 v5, v6, v7
	v_cndmask_b32_e32 v4, v0, v4, vcc_lo
.LBB39_23:
	s_or_b32 exec_lo, exec_lo, s7
.LBB39_24:
	s_or_b32 exec_lo, exec_lo, s6
                                        ; implicit-def: $vgpr0
.LBB39_25:
	s_andn2_saveexec_b32 s6, s12
	s_cbranch_execz .LBB39_27
; %bb.26:
	v_div_scale_f32 v4, null, 0x402df854, 0x402df854, v0
	v_div_scale_f32 v5, null, 0x402df854, 0x402df854, v1
	v_div_scale_f32 v10, vcc_lo, v0, 0x402df854, v0
	v_rcp_f32_e32 v6, v4
	v_rcp_f32_e32 v7, v5
	v_cmp_class_f32_e64 s7, v1, 0x204
	v_fma_f32 v8, -v4, v6, 1.0
	v_fma_f32 v9, -v5, v7, 1.0
	v_fmac_f32_e32 v6, v8, v6
	v_div_scale_f32 v8, s5, v1, 0x402df854, v1
	v_fmac_f32_e32 v7, v9, v7
	v_mul_f32_e32 v9, v10, v6
	v_mul_f32_e32 v11, v8, v7
	v_fma_f32 v12, -v4, v9, v10
	v_fma_f32 v13, -v5, v11, v8
	v_fmac_f32_e32 v9, v12, v6
	v_fmac_f32_e32 v11, v13, v7
	v_fma_f32 v4, -v4, v9, v10
	v_fma_f32 v5, -v5, v11, v8
	v_div_fmas_f32 v4, v4, v6, v9
	s_mov_b32 vcc_lo, s5
	v_max_f32_e64 v9, |v0|, |v0|
	v_div_fmas_f32 v5, v5, v7, v11
	s_mov_b32 s5, 0x3b2d2a58
	v_div_fixup_f32 v6, v4, 0x402df854, v0
	v_div_fixup_f32 v7, v5, 0x402df854, v1
	v_max_f32_e64 v8, |v6|, |v7|
	v_cvt_f64_f32_e32 v[4:5], v8
	v_cmp_neq_f32_e32 vcc_lo, 0x7f800000, v8
	v_frexp_exp_i32_f64_e32 v4, v[4:5]
	v_max_f32_e64 v5, |v1|, |v1|
	v_max_f32_e32 v10, v9, v5
	v_min_f32_e32 v5, v9, v5
	v_frexp_mant_f32_e32 v11, v10
	v_frexp_exp_i32_f32_e32 v10, v10
	v_frexp_exp_i32_f32_e32 v12, v5
	v_frexp_mant_f32_e32 v5, v5
	v_rcp_f32_e32 v9, v11
	v_sub_nc_u32_e32 v10, v12, v10
	v_sub_nc_u32_e32 v11, 0, v4
	v_mul_f32_e32 v5, v5, v9
	v_ldexp_f32 v7, |v7|, v11
	v_ldexp_f32 v6, |v6|, v11
	v_ldexp_f32 v5, v5, v10
	v_mul_f32_e32 v7, v7, v7
	v_fmac_f32_e32 v7, v6, v6
	v_mul_f32_e32 v6, v5, v5
	v_sqrt_f32_e32 v7, v7
	v_fmaak_f32 v9, s5, v6, 0xbc7a590c
	v_cmp_class_f32_e64 s5, v0, 0x204
	v_fmaak_f32 v9, v6, v9, 0x3d29fb3f
	v_ldexp_f32 v4, v7, v4
	v_fmaak_f32 v7, v6, v9, 0xbd97d4d7
	v_cndmask_b32_e32 v4, 0x7f800000, v4, vcc_lo
	v_fmaak_f32 v7, v6, v7, 0x3dd931b2
	v_cmp_gt_f32_e32 vcc_lo, 0x800000, v4
	v_fmaak_f32 v7, v6, v7, 0xbe1160e6
	v_cndmask_b32_e64 v8, 0, 32, vcc_lo
	v_fmaak_f32 v7, v6, v7, 0x3e4cb8bf
	v_cndmask_b32_e64 v10, 0, 0x41b17218, vcc_lo
	v_ldexp_f32 v4, v4, v8
	v_fmaak_f32 v7, v6, v7, 0xbeaaaa62
	v_mov_b32_e32 v8, 0x4016cbe4
	v_log_f32_e32 v4, v4
	v_mul_f32_e32 v6, v6, v7
	v_fmac_f32_e32 v5, v5, v6
	v_mul_f32_e32 v7, 0x3f317217, v4
	v_cmp_gt_f32_e64 vcc_lo, 0x7f800000, |v4|
	v_fma_f32 v6, 0x3f317217, v4, -v7
	v_sub_f32_e32 v7, 0x3fc90fdb, v5
	v_fmamk_f32 v6, v4, 0x3377d1cf, v6
	v_cndmask_b32_e64 v5, v5, v7, s4
	v_cmp_gt_i32_e64 s4, 0, v0
	v_fmac_f32_e32 v6, 0x3f317217, v4
	v_sub_f32_e32 v9, 0x40490fdb, v5
	v_cndmask_b32_e64 v7, 0, 0x40490fdb, s4
	v_cmp_gt_f32_e64 s4, 0, v0
	v_cndmask_b32_e32 v4, v4, v6, vcc_lo
	v_cmp_eq_f32_e32 vcc_lo, 0, v1
	v_cndmask_b32_e64 v0, v5, v9, s4
	v_cndmask_b32_e64 v6, 0x3f490fdb, v8, s4
	v_sub_f32_e32 v4, v4, v10
	v_cndmask_b32_e32 v0, v0, v7, vcc_lo
	s_and_b32 vcc_lo, s5, s7
	v_add_f32_e32 v5, 1.0, v4
	v_cndmask_b32_e32 v4, v0, v6, vcc_lo
.LBB39_27:
	s_or_b32 exec_lo, exec_lo, s6
                                        ; implicit-def: $vgpr0
.LBB39_28:
	s_andn2_saveexec_b32 s4, s11
	s_cbranch_execz .LBB39_34
; %bb.29:
	v_cmp_ngt_f32_e64 s5, 0x20000000, |v0|
	v_cmp_ngt_f32_e64 s6, 0x20000000, |v1|
                                        ; implicit-def: $vgpr4
	s_or_b32 s5, s5, s6
	s_and_saveexec_b32 s6, s5
	s_xor_b32 s5, exec_lo, s6
; %bb.30:
	v_mul_f32_e32 v4, v1, v1
	v_fmac_f32_e32 v4, v0, v0
                                        ; implicit-def: $vgpr0
; %bb.31:
	s_andn2_saveexec_b32 s5, s5
; %bb.32:
	v_mul_f32_e32 v4, 4.0, v1
	v_mul_f32_e32 v0, 4.0, v0
	v_mul_f32_e32 v4, v4, v4
	v_fmac_f32_e32 v4, v0, v0
	v_mul_f32_e32 v4, 0x3d800000, v4
; %bb.33:
	s_or_b32 exec_lo, exec_lo, s5
	v_cmp_gt_f32_e32 vcc_lo, 0x800000, v4
	v_cndmask_b32_e64 v0, 0, 32, vcc_lo
	v_cndmask_b32_e64 v5, 0, 0x41b17218, vcc_lo
	v_ldexp_f32 v0, v4, v0
	v_log_f32_e32 v0, v0
	v_mul_f32_e32 v4, 0x3f317217, v0
	v_cmp_gt_f32_e64 vcc_lo, 0x7f800000, |v0|
	v_fma_f32 v4, 0x3f317217, v0, -v4
	v_fmamk_f32 v4, v0, 0x3377d1cf, v4
	v_fmac_f32_e32 v4, 0x3f317217, v0
	v_cndmask_b32_e32 v0, v0, v4, vcc_lo
	v_mov_b32_e32 v4, 0x7fc00000
	v_sub_f32_e32 v5, v0, v5
.LBB39_34:
	s_or_b32 exec_lo, exec_lo, s4
	v_bfi_b32 v0, 0x7fffffff, v4, v1
	v_mul_f32_e32 v1, v3, v5
	s_mov_b32 s4, exec_lo
	v_mul_f32_e64 v4, v3, -v0
	v_fmac_f32_e32 v1, v2, v0
                                        ; implicit-def: $vgpr0
	v_fmac_f32_e32 v4, v2, v5
	v_and_b32_e32 v3, 0x7fffffff, v1
	v_cmpx_ne_u32_e32 0, v3
	s_xor_b32 s6, exec_lo, s4
	s_cbranch_execz .LBB39_40
; %bb.35:
	v_and_b32_e32 v2, 0x7fffffff, v4
                                        ; implicit-def: $vgpr0
	s_mov_b32 s4, exec_lo
	v_cmpx_ne_u32_e32 0, v2
	s_xor_b32 s7, exec_lo, s4
	s_cbranch_execz .LBB39_67
; %bb.36:
                                        ; implicit-def: $vgpr0
	s_mov_b32 s4, exec_lo
	v_cmpx_gt_u32_e32 0x7f800000, v3
	s_xor_b32 s8, exec_lo, s4
	s_cbranch_execz .LBB39_60
; %bb.37:
	v_add_nc_u32_e32 v0, 0xbd4e8de8, v4
	v_cmp_lt_u32_e32 vcc_lo, 0x8e8e5c, v0
                                        ; implicit-def: $vgpr0
	s_and_saveexec_b32 s4, vcc_lo
	s_xor_b32 s9, exec_lo, s4
	s_cbranch_execz .LBB39_49
; %bb.38:
	v_cmp_ngt_f32_e64 s10, 0x48000000, |v1|
                                        ; implicit-def: $vgpr2
                                        ; implicit-def: $vgpr0
	s_and_saveexec_b32 s4, s10
	s_xor_b32 s11, exec_lo, s4
	s_cbranch_execz .LBB39_42
; %bb.39:
	s_mov_b32 s4, 0x7fffff
	v_mov_b32_e32 v7, 0
	v_and_or_b32 v0, v3, s4, 0x800000
	v_lshrrev_b32_e32 v2, 23, v3
	v_mad_u64_u32 v[5:6], null, 0xfe5163ab, v0, 0
	v_add_nc_u32_e32 v2, 0xffffff88, v2
	v_cmp_lt_u32_e32 vcc_lo, 63, v2
	v_mad_u64_u32 v[8:9], null, 0x3c439041, v0, v[6:7]
	v_cndmask_b32_e64 v13, 0, 0xffffffc0, vcc_lo
	v_mov_b32_e32 v6, v9
	v_add_nc_u32_e32 v2, v13, v2
	v_mad_u64_u32 v[9:10], null, 0xdb629599, v0, v[6:7]
	v_cmp_lt_u32_e64 s4, 31, v2
	v_cndmask_b32_e64 v14, 0, 0xffffffe0, s4
	v_mov_b32_e32 v6, v10
	v_cndmask_b32_e32 v5, v9, v5, vcc_lo
	v_add_nc_u32_e32 v2, v14, v2
	v_mad_u64_u32 v[10:11], null, 0xf534ddc0, v0, v[6:7]
	v_cmp_lt_u32_e64 s5, 31, v2
	v_mov_b32_e32 v6, v11
	v_mad_u64_u32 v[11:12], null, 0xfc2757d1, v0, v[6:7]
	v_mov_b32_e32 v6, v12
	v_mad_u64_u32 v[12:13], null, 0x4e441529, v0, v[6:7]
	v_mov_b32_e32 v6, v13
	v_cndmask_b32_e32 v13, v12, v10, vcc_lo
	v_mad_u64_u32 v[6:7], null, 0xa2f9836e, v0, v[6:7]
	v_cndmask_b32_e64 v0, 0, 0xffffffe0, s5
	v_add_nc_u32_e32 v0, v0, v2
	v_cndmask_b32_e32 v6, v6, v11, vcc_lo
	v_cndmask_b32_e32 v7, v7, v12, vcc_lo
	;; [unrolled: 1-line block ×4, first 2 shown]
	v_sub_nc_u32_e32 v10, 32, v0
	v_cndmask_b32_e64 v8, v6, v13, s4
	v_cndmask_b32_e64 v6, v7, v6, s4
	;; [unrolled: 1-line block ×4, first 2 shown]
	v_cmp_eq_u32_e32 vcc_lo, 0, v0
	v_cndmask_b32_e64 v2, v2, v5, s4
	v_cndmask_b32_e64 v6, v6, v8, s5
	;; [unrolled: 1-line block ×5, first 2 shown]
	v_alignbit_b32 v12, v6, v8, v10
	v_alignbit_b32 v9, v8, v7, v10
	;; [unrolled: 1-line block ×3, first 2 shown]
	v_cndmask_b32_e32 v0, v12, v6, vcc_lo
	v_cndmask_b32_e32 v5, v9, v8, vcc_lo
	;; [unrolled: 1-line block ×3, first 2 shown]
	v_bfe_u32 v6, v0, 29, 1
	v_alignbit_b32 v8, v0, v5, 30
	v_alignbit_b32 v5, v5, v7, 30
	;; [unrolled: 1-line block ×3, first 2 shown]
	v_sub_nc_u32_e32 v9, 0, v6
	v_xor_b32_e32 v8, v8, v9
	v_xor_b32_e32 v5, v5, v9
	;; [unrolled: 1-line block ×3, first 2 shown]
	v_lshrrev_b32_e32 v9, 29, v0
	v_ffbh_u32_e32 v10, v8
	v_min_u32_e32 v10, 32, v10
	v_sub_nc_u32_e32 v7, 31, v10
	v_lshlrev_b32_e32 v11, 23, v10
	v_alignbit_b32 v8, v8, v5, v7
	v_alignbit_b32 v2, v5, v2, v7
	v_lshlrev_b32_e32 v5, 31, v9
	v_alignbit_b32 v7, v8, v2, 9
	v_or_b32_e32 v9, 0.5, v5
	v_lshrrev_b32_e32 v8, 9, v8
	v_or_b32_e32 v5, 0x33000000, v5
	v_ffbh_u32_e32 v12, v7
	v_sub_nc_u32_e32 v9, v9, v11
	v_min_u32_e32 v11, 32, v12
	v_or_b32_e32 v8, v8, v9
	v_not_b32_e32 v9, v11
	v_mul_f32_e32 v12, 0x3fc90fda, v8
	v_add_lshl_u32 v10, v11, v10, 23
	v_alignbit_b32 v2, v7, v2, v9
	v_fma_f32 v7, 0x3fc90fda, v8, -v12
	v_sub_nc_u32_e32 v5, v5, v10
	v_lshrrev_b32_e32 v2, 9, v2
	v_fmamk_f32 v7, v8, 0x33a22168, v7
	v_or_b32_e32 v2, v5, v2
	v_fmac_f32_e32 v7, 0x3fc90fda, v2
	v_lshrrev_b32_e32 v2, 30, v0
	v_add_f32_e32 v0, v12, v7
	v_add_nc_u32_e32 v2, v6, v2
	s_andn2_saveexec_b32 s4, s11
	s_branch .LBB39_43
.LBB39_40:
	s_andn2_saveexec_b32 s4, s6
	s_cbranch_execz .LBB39_78
.LBB39_41:
	v_mul_f32_e32 v0, 0x3fb8aa3b, v4
	v_cmp_ngt_f32_e32 vcc_lo, 0xc2ce8ed0, v4
	v_rndne_f32_e32 v2, v0
	v_fma_f32 v3, 0x3fb8aa3b, v4, -v0
	v_sub_f32_e32 v0, v0, v2
	v_fmamk_f32 v3, v4, 0x32a5705f, v3
	v_cvt_i32_f32_e32 v2, v2
	v_add_f32_e32 v0, v0, v3
	v_exp_f32_e32 v0, v0
	v_ldexp_f32 v0, v0, v2
	v_cndmask_b32_e32 v0, 0, v0, vcc_lo
	v_cmp_nlt_f32_e32 vcc_lo, 0x42b17218, v4
	v_cndmask_b32_e32 v0, 0x7f800000, v0, vcc_lo
	s_or_b32 exec_lo, exec_lo, s4
	s_setpc_b64 s[30:31]
.LBB39_42:
	s_andn2_saveexec_b32 s4, s11
.LBB39_43:
	v_mul_f32_e64 v0, 0x3f22f983, |v1|
	v_rndne_f32_e32 v2, v0
	v_fma_f32 v0, 0xbfc90fda, v2, |v1|
	v_fmamk_f32 v0, v2, 0xb3a22168, v0
	v_fmamk_f32 v0, v2, 0xa7c234c4, v0
	v_cvt_i32_f32_e32 v2, v2
; %bb.44:
	s_or_b32 exec_lo, exec_lo, s4
                                        ; implicit-def: $vgpr6
                                        ; implicit-def: $vgpr5
	s_and_saveexec_b32 s4, s10
	s_xor_b32 s10, exec_lo, s4
	s_cbranch_execz .LBB39_46
; %bb.45:
	s_mov_b32 s4, 0x7fffff
	v_mov_b32_e32 v7, 0
	v_and_or_b32 v14, v3, s4, 0x800000
	v_lshrrev_b32_e32 v12, 23, v3
	v_mad_u64_u32 v[5:6], null, 0xfe5163ab, v14, 0
	v_add_nc_u32_e32 v13, 0xffffff88, v12
	v_cmp_lt_u32_e32 vcc_lo, 63, v13
	v_mad_u64_u32 v[8:9], null, 0x3c439041, v14, v[6:7]
	v_cndmask_b32_e64 v15, 0, 0xffffffc0, vcc_lo
	v_mov_b32_e32 v6, v9
	v_add_nc_u32_e32 v15, v15, v13
	v_mad_u64_u32 v[9:10], null, 0xdb629599, v14, v[6:7]
	v_cmp_lt_u32_e64 s4, 31, v15
	v_cndmask_b32_e64 v16, 0, 0xffffffe0, s4
	v_mov_b32_e32 v6, v10
	v_cndmask_b32_e32 v5, v9, v5, vcc_lo
	v_mad_u64_u32 v[10:11], null, 0xf534ddc0, v14, v[6:7]
	v_mov_b32_e32 v6, v11
	v_cndmask_b32_e32 v8, v10, v8, vcc_lo
	v_mad_u64_u32 v[11:12], null, 0xfc2757d1, v14, v[6:7]
	v_cndmask_b32_e64 v5, v8, v5, s4
	v_mov_b32_e32 v6, v12
	v_mad_u64_u32 v[12:13], null, 0x4e441529, v14, v[6:7]
	v_mov_b32_e32 v6, v13
	v_add_nc_u32_e32 v13, v16, v15
	v_cndmask_b32_e32 v15, v12, v10, vcc_lo
	v_mad_u64_u32 v[6:7], null, 0xa2f9836e, v14, v[6:7]
	v_cmp_lt_u32_e64 s5, 31, v13
	v_cndmask_b32_e64 v14, 0, 0xffffffe0, s5
	v_cndmask_b32_e32 v6, v6, v11, vcc_lo
	v_cndmask_b32_e32 v7, v7, v12, vcc_lo
	;; [unrolled: 1-line block ×3, first 2 shown]
	v_add_nc_u32_e32 v12, v14, v13
	v_cndmask_b32_e64 v10, v6, v15, s4
	v_cndmask_b32_e64 v6, v7, v6, s4
	;; [unrolled: 1-line block ×4, first 2 shown]
	v_sub_nc_u32_e32 v13, 32, v12
	v_cmp_eq_u32_e32 vcc_lo, 0, v12
	v_cndmask_b32_e64 v6, v6, v10, s5
	v_cndmask_b32_e64 v10, v10, v7, s5
	;; [unrolled: 1-line block ×4, first 2 shown]
	v_alignbit_b32 v14, v6, v10, v13
	v_alignbit_b32 v9, v10, v7, v13
	;; [unrolled: 1-line block ×3, first 2 shown]
	v_cndmask_b32_e32 v6, v14, v6, vcc_lo
	v_cndmask_b32_e32 v8, v9, v10, vcc_lo
	;; [unrolled: 1-line block ×3, first 2 shown]
	v_bfe_u32 v9, v6, 29, 1
	v_alignbit_b32 v10, v6, v8, 30
	v_alignbit_b32 v8, v8, v7, 30
	;; [unrolled: 1-line block ×3, first 2 shown]
	v_sub_nc_u32_e32 v11, 0, v9
	v_xor_b32_e32 v10, v10, v11
	v_xor_b32_e32 v7, v8, v11
	;; [unrolled: 1-line block ×3, first 2 shown]
	v_lshrrev_b32_e32 v11, 29, v6
	v_lshrrev_b32_e32 v6, 30, v6
	v_ffbh_u32_e32 v12, v10
	v_add_nc_u32_e32 v6, v9, v6
	v_min_u32_e32 v12, 32, v12
	v_sub_nc_u32_e32 v8, 31, v12
	v_lshlrev_b32_e32 v13, 23, v12
	v_alignbit_b32 v10, v10, v7, v8
	v_alignbit_b32 v5, v7, v5, v8
	v_lshlrev_b32_e32 v7, 31, v11
	v_alignbit_b32 v8, v10, v5, 9
	v_or_b32_e32 v11, 0.5, v7
	v_lshrrev_b32_e32 v10, 9, v10
	v_or_b32_e32 v7, 0x33000000, v7
	v_ffbh_u32_e32 v14, v8
	v_sub_nc_u32_e32 v11, v11, v13
	v_min_u32_e32 v13, 32, v14
	v_or_b32_e32 v10, v10, v11
	v_not_b32_e32 v11, v13
	v_mul_f32_e32 v14, 0x3fc90fda, v10
	v_add_lshl_u32 v12, v13, v12, 23
	v_alignbit_b32 v5, v8, v5, v11
	v_fma_f32 v8, 0x3fc90fda, v10, -v14
	v_sub_nc_u32_e32 v7, v7, v12
	v_lshrrev_b32_e32 v5, 9, v5
	v_fmamk_f32 v8, v10, 0x33a22168, v8
	v_or_b32_e32 v5, v7, v5
	v_fmac_f32_e32 v8, 0x3fc90fda, v5
	v_add_f32_e32 v5, v14, v8
	s_andn2_saveexec_b32 s4, s10
	s_cbranch_execnz .LBB39_47
	s_branch .LBB39_48
.LBB39_46:
	s_andn2_saveexec_b32 s4, s10
.LBB39_47:
	v_mul_f32_e64 v5, 0x3f22f983, |v1|
	v_rndne_f32_e32 v6, v5
	v_fma_f32 v5, 0xbfc90fda, v6, |v1|
	v_fmamk_f32 v5, v6, 0xb3a22168, v5
	v_fmamk_f32 v5, v6, 0xa7c234c4, v5
	v_cvt_i32_f32_e32 v6, v6
.LBB39_48:
	s_or_b32 exec_lo, exec_lo, s4
	v_mul_f32_e32 v7, 0x3fb8aa3b, v4
	v_mul_f32_e32 v8, v0, v0
	s_mov_b32 s4, 0xb94c1982
	s_mov_b32 s5, 0x37d75334
	v_mul_f32_e32 v12, v5, v5
	v_rndne_f32_e32 v9, v7
	v_fma_f32 v10, 0x3fb8aa3b, v4, -v7
	v_fmaak_f32 v13, s4, v8, 0x3c0881c4
	v_fmaak_f32 v14, s5, v8, 0xbab64f3b
	;; [unrolled: 1-line block ×3, first 2 shown]
	v_sub_f32_e32 v7, v7, v9
	v_fmamk_f32 v10, v4, 0x32a5705f, v10
	v_fmaak_f32 v16, s5, v12, 0xbab64f3b
	v_and_b32_e32 v11, 1, v2
	v_cvt_i32_f32_e32 v9, v9
	v_lshlrev_b32_e32 v2, 30, v2
	v_add_f32_e32 v7, v7, v10
	v_fmaak_f32 v10, v8, v13, 0xbe2aaa9d
	v_fmaak_f32 v13, v8, v14, 0x3d2aabf7
	;; [unrolled: 1-line block ×4, first 2 shown]
	v_exp_f32_e32 v7, v7
	v_mul_f32_e32 v10, v8, v10
	v_fmaak_f32 v13, v8, v13, 0xbf000004
	v_mul_f32_e32 v14, v12, v14
	v_fmaak_f32 v15, v12, v15, 0xbf000004
	v_cmp_eq_u32_e32 vcc_lo, 0, v11
	v_fmac_f32_e32 v0, v0, v10
	v_fma_f32 v8, v8, v13, 1.0
	v_fmac_f32_e32 v5, v5, v14
	v_fma_f32 v10, v12, v15, 1.0
	v_ldexp_f32 v7, v7, v9
	v_and_b32_e32 v9, 1, v6
	v_lshlrev_b32_e32 v6, 30, v6
	v_cndmask_b32_e64 v0, -v0, v8, vcc_lo
	v_and_b32_e32 v2, 0x80000000, v2
	v_cmp_nlt_f32_e64 s4, 0x42b17218, v4
	v_cmp_eq_u32_e32 vcc_lo, 0, v9
	v_and_or_b32 v3, 0x80000000, v6, v3
	v_xor_b32_e32 v0, v2, v0
	v_cndmask_b32_e32 v5, v10, v5, vcc_lo
	v_cmp_ngt_f32_e32 vcc_lo, 0xc2ce8ed0, v4
                                        ; implicit-def: $vgpr4
	v_cndmask_b32_e32 v6, 0, v7, vcc_lo
	v_cmp_class_f32_e64 vcc_lo, v1, 0x1f8
	v_xor3_b32 v1, v3, v5, v1
                                        ; implicit-def: $vgpr3
	v_cndmask_b32_e64 v2, 0x7f800000, v6, s4
	v_cndmask_b32_e32 v0, 0x7fc00000, v0, vcc_lo
	v_cndmask_b32_e32 v1, 0x7fc00000, v1, vcc_lo
	v_mul_f32_e32 v0, v2, v0
	v_mul_f32_e32 v1, v2, v1
.LBB39_49:
	s_andn2_saveexec_b32 s9, s9
	s_cbranch_execz .LBB39_52
; %bb.50:
	v_cmp_ngt_f32_e64 s10, 0x48000000, |v1|
                                        ; implicit-def: $vgpr2
                                        ; implicit-def: $vgpr0
	s_and_saveexec_b32 s4, s10
	s_xor_b32 s11, exec_lo, s4
	s_cbranch_execz .LBB39_53
; %bb.51:
	s_mov_b32 s4, 0x7fffff
	v_mov_b32_e32 v7, 0
	v_and_or_b32 v0, v3, s4, 0x800000
	v_lshrrev_b32_e32 v2, 23, v3
	v_mad_u64_u32 v[5:6], null, 0xfe5163ab, v0, 0
	v_add_nc_u32_e32 v2, 0xffffff88, v2
	v_cmp_lt_u32_e32 vcc_lo, 63, v2
	v_mad_u64_u32 v[8:9], null, 0x3c439041, v0, v[6:7]
	v_cndmask_b32_e64 v13, 0, 0xffffffc0, vcc_lo
	v_mov_b32_e32 v6, v9
	v_add_nc_u32_e32 v2, v13, v2
	v_mad_u64_u32 v[9:10], null, 0xdb629599, v0, v[6:7]
	v_cmp_lt_u32_e64 s4, 31, v2
	v_cndmask_b32_e64 v14, 0, 0xffffffe0, s4
	v_mov_b32_e32 v6, v10
	v_cndmask_b32_e32 v5, v9, v5, vcc_lo
	v_add_nc_u32_e32 v2, v14, v2
	v_mad_u64_u32 v[10:11], null, 0xf534ddc0, v0, v[6:7]
	v_cmp_lt_u32_e64 s5, 31, v2
	v_mov_b32_e32 v6, v11
	v_mad_u64_u32 v[11:12], null, 0xfc2757d1, v0, v[6:7]
	v_mov_b32_e32 v6, v12
	v_mad_u64_u32 v[12:13], null, 0x4e441529, v0, v[6:7]
	v_mov_b32_e32 v6, v13
	v_cndmask_b32_e32 v13, v12, v10, vcc_lo
	v_mad_u64_u32 v[6:7], null, 0xa2f9836e, v0, v[6:7]
	v_cndmask_b32_e64 v0, 0, 0xffffffe0, s5
	v_add_nc_u32_e32 v0, v0, v2
	v_cndmask_b32_e32 v6, v6, v11, vcc_lo
	v_cndmask_b32_e32 v7, v7, v12, vcc_lo
	;; [unrolled: 1-line block ×4, first 2 shown]
	v_sub_nc_u32_e32 v10, 32, v0
	v_cndmask_b32_e64 v8, v6, v13, s4
	v_cndmask_b32_e64 v6, v7, v6, s4
	;; [unrolled: 1-line block ×4, first 2 shown]
	v_cmp_eq_u32_e32 vcc_lo, 0, v0
	v_cndmask_b32_e64 v2, v2, v5, s4
	v_cndmask_b32_e64 v6, v6, v8, s5
	;; [unrolled: 1-line block ×5, first 2 shown]
	v_alignbit_b32 v12, v6, v8, v10
	v_alignbit_b32 v9, v8, v7, v10
	;; [unrolled: 1-line block ×3, first 2 shown]
	v_cndmask_b32_e32 v0, v12, v6, vcc_lo
	v_cndmask_b32_e32 v5, v9, v8, vcc_lo
	;; [unrolled: 1-line block ×3, first 2 shown]
	v_bfe_u32 v6, v0, 29, 1
	v_alignbit_b32 v8, v0, v5, 30
	v_alignbit_b32 v5, v5, v7, 30
	v_alignbit_b32 v2, v7, v2, 30
	v_sub_nc_u32_e32 v9, 0, v6
	v_xor_b32_e32 v8, v8, v9
	v_xor_b32_e32 v5, v5, v9
	;; [unrolled: 1-line block ×3, first 2 shown]
	v_lshrrev_b32_e32 v9, 29, v0
	v_ffbh_u32_e32 v10, v8
	v_min_u32_e32 v10, 32, v10
	v_sub_nc_u32_e32 v7, 31, v10
	v_lshlrev_b32_e32 v11, 23, v10
	v_alignbit_b32 v8, v8, v5, v7
	v_alignbit_b32 v2, v5, v2, v7
	v_lshlrev_b32_e32 v5, 31, v9
	v_alignbit_b32 v7, v8, v2, 9
	v_or_b32_e32 v9, 0.5, v5
	v_lshrrev_b32_e32 v8, 9, v8
	v_or_b32_e32 v5, 0x33000000, v5
	v_ffbh_u32_e32 v12, v7
	v_sub_nc_u32_e32 v9, v9, v11
	v_min_u32_e32 v11, 32, v12
	v_or_b32_e32 v8, v8, v9
	v_not_b32_e32 v9, v11
	v_mul_f32_e32 v12, 0x3fc90fda, v8
	v_add_lshl_u32 v10, v11, v10, 23
	v_alignbit_b32 v2, v7, v2, v9
	v_fma_f32 v7, 0x3fc90fda, v8, -v12
	v_sub_nc_u32_e32 v5, v5, v10
	v_lshrrev_b32_e32 v2, 9, v2
	v_fmamk_f32 v7, v8, 0x33a22168, v7
	v_or_b32_e32 v2, v5, v2
	v_fmac_f32_e32 v7, 0x3fc90fda, v2
	v_lshrrev_b32_e32 v2, 30, v0
	v_add_f32_e32 v0, v12, v7
	v_add_nc_u32_e32 v2, v6, v2
	s_andn2_saveexec_b32 s4, s11
	s_branch .LBB39_54
.LBB39_52:
	s_or_b32 exec_lo, exec_lo, s9
                                        ; implicit-def: $vgpr4
                                        ; implicit-def: $vgpr2
	s_andn2_saveexec_b32 s4, s8
	s_cbranch_execnz .LBB39_61
	s_branch .LBB39_66
.LBB39_53:
	s_andn2_saveexec_b32 s4, s11
.LBB39_54:
	v_mul_f32_e64 v0, 0x3f22f983, |v1|
	v_rndne_f32_e32 v2, v0
	v_fma_f32 v0, 0xbfc90fda, v2, |v1|
	v_fmamk_f32 v0, v2, 0xb3a22168, v0
	v_fmamk_f32 v0, v2, 0xa7c234c4, v0
	v_cvt_i32_f32_e32 v2, v2
; %bb.55:
	s_or_b32 exec_lo, exec_lo, s4
                                        ; implicit-def: $vgpr6
                                        ; implicit-def: $vgpr5
	s_and_saveexec_b32 s4, s10
	s_xor_b32 s10, exec_lo, s4
	s_cbranch_execz .LBB39_57
; %bb.56:
	s_mov_b32 s4, 0x7fffff
	v_mov_b32_e32 v7, 0
	v_and_or_b32 v14, v3, s4, 0x800000
	v_lshrrev_b32_e32 v12, 23, v3
	v_mad_u64_u32 v[5:6], null, 0xfe5163ab, v14, 0
	v_add_nc_u32_e32 v13, 0xffffff88, v12
	v_cmp_lt_u32_e32 vcc_lo, 63, v13
	v_mad_u64_u32 v[8:9], null, 0x3c439041, v14, v[6:7]
	v_cndmask_b32_e64 v15, 0, 0xffffffc0, vcc_lo
	v_mov_b32_e32 v6, v9
	v_add_nc_u32_e32 v15, v15, v13
	v_mad_u64_u32 v[9:10], null, 0xdb629599, v14, v[6:7]
	v_cmp_lt_u32_e64 s4, 31, v15
	v_cndmask_b32_e64 v16, 0, 0xffffffe0, s4
	v_mov_b32_e32 v6, v10
	v_cndmask_b32_e32 v5, v9, v5, vcc_lo
	v_mad_u64_u32 v[10:11], null, 0xf534ddc0, v14, v[6:7]
	v_mov_b32_e32 v6, v11
	v_cndmask_b32_e32 v8, v10, v8, vcc_lo
	v_mad_u64_u32 v[11:12], null, 0xfc2757d1, v14, v[6:7]
	v_cndmask_b32_e64 v5, v8, v5, s4
	v_mov_b32_e32 v6, v12
	v_mad_u64_u32 v[12:13], null, 0x4e441529, v14, v[6:7]
	v_mov_b32_e32 v6, v13
	v_add_nc_u32_e32 v13, v16, v15
	v_cndmask_b32_e32 v15, v12, v10, vcc_lo
	v_mad_u64_u32 v[6:7], null, 0xa2f9836e, v14, v[6:7]
	v_cmp_lt_u32_e64 s5, 31, v13
	v_cndmask_b32_e64 v14, 0, 0xffffffe0, s5
	v_cndmask_b32_e32 v6, v6, v11, vcc_lo
	v_cndmask_b32_e32 v7, v7, v12, vcc_lo
	;; [unrolled: 1-line block ×3, first 2 shown]
	v_add_nc_u32_e32 v12, v14, v13
	v_cndmask_b32_e64 v10, v6, v15, s4
	v_cndmask_b32_e64 v6, v7, v6, s4
	;; [unrolled: 1-line block ×4, first 2 shown]
	v_sub_nc_u32_e32 v13, 32, v12
	v_cmp_eq_u32_e32 vcc_lo, 0, v12
	v_cndmask_b32_e64 v6, v6, v10, s5
	v_cndmask_b32_e64 v10, v10, v7, s5
	;; [unrolled: 1-line block ×4, first 2 shown]
	v_alignbit_b32 v14, v6, v10, v13
	v_alignbit_b32 v9, v10, v7, v13
	;; [unrolled: 1-line block ×3, first 2 shown]
	v_cndmask_b32_e32 v6, v14, v6, vcc_lo
	v_cndmask_b32_e32 v8, v9, v10, vcc_lo
	;; [unrolled: 1-line block ×3, first 2 shown]
	v_bfe_u32 v9, v6, 29, 1
	v_alignbit_b32 v10, v6, v8, 30
	v_alignbit_b32 v8, v8, v7, 30
	;; [unrolled: 1-line block ×3, first 2 shown]
	v_sub_nc_u32_e32 v11, 0, v9
	v_xor_b32_e32 v10, v10, v11
	v_xor_b32_e32 v7, v8, v11
	;; [unrolled: 1-line block ×3, first 2 shown]
	v_lshrrev_b32_e32 v11, 29, v6
	v_lshrrev_b32_e32 v6, 30, v6
	v_ffbh_u32_e32 v12, v10
	v_add_nc_u32_e32 v6, v9, v6
	v_min_u32_e32 v12, 32, v12
	v_sub_nc_u32_e32 v8, 31, v12
	v_lshlrev_b32_e32 v13, 23, v12
	v_alignbit_b32 v10, v10, v7, v8
	v_alignbit_b32 v5, v7, v5, v8
	v_lshlrev_b32_e32 v7, 31, v11
	v_alignbit_b32 v8, v10, v5, 9
	v_or_b32_e32 v11, 0.5, v7
	v_lshrrev_b32_e32 v10, 9, v10
	v_or_b32_e32 v7, 0x33000000, v7
	v_ffbh_u32_e32 v14, v8
	v_sub_nc_u32_e32 v11, v11, v13
	v_min_u32_e32 v13, 32, v14
	v_or_b32_e32 v10, v10, v11
	v_not_b32_e32 v11, v13
	v_mul_f32_e32 v14, 0x3fc90fda, v10
	v_add_lshl_u32 v12, v13, v12, 23
	v_alignbit_b32 v5, v8, v5, v11
	v_fma_f32 v8, 0x3fc90fda, v10, -v14
	v_sub_nc_u32_e32 v7, v7, v12
	v_lshrrev_b32_e32 v5, 9, v5
	v_fmamk_f32 v8, v10, 0x33a22168, v8
	v_or_b32_e32 v5, v7, v5
	v_fmac_f32_e32 v8, 0x3fc90fda, v5
	v_add_f32_e32 v5, v14, v8
	s_andn2_saveexec_b32 s4, s10
	s_cbranch_execnz .LBB39_58
	s_branch .LBB39_59
.LBB39_57:
	s_andn2_saveexec_b32 s4, s10
.LBB39_58:
	v_mul_f32_e64 v5, 0x3f22f983, |v1|
	v_rndne_f32_e32 v6, v5
	v_fma_f32 v5, 0xbfc90fda, v6, |v1|
	v_fmamk_f32 v5, v6, 0xb3a22168, v5
	v_fmamk_f32 v5, v6, 0xa7c234c4, v5
	v_cvt_i32_f32_e32 v6, v6
.LBB39_59:
	s_or_b32 exec_lo, exec_lo, s4
	v_add_f32_e32 v4, 0xc322e3bc, v4
	v_mul_f32_e32 v10, v0, v0
	s_mov_b32 s4, 0x37d75334
	s_mov_b32 s5, 0xb94c1982
	v_mul_f32_e32 v11, v5, v5
	v_mul_f32_e32 v7, 0x3fb8aa3b, v4
	v_cmp_ngt_f32_e32 vcc_lo, 0xc2ce8ed0, v4
	v_fmaak_f32 v12, s4, v10, 0xbab64f3b
	v_fmaak_f32 v13, s5, v10, 0x3c0881c4
	;; [unrolled: 1-line block ×3, first 2 shown]
	v_fma_f32 v8, 0x3fb8aa3b, v4, -v7
	v_rndne_f32_e32 v9, v7
	v_fmaak_f32 v14, v11, v14, 0xbe2aaa9d
	v_fmamk_f32 v8, v4, 0x32a5705f, v8
	v_sub_f32_e32 v7, v7, v9
	v_cvt_i32_f32_e32 v9, v9
	v_mul_f32_e32 v14, v11, v14
	v_add_f32_e32 v7, v7, v8
	v_lshlrev_b32_e32 v8, 30, v2
	v_and_b32_e32 v2, 1, v2
	v_fmac_f32_e32 v5, v5, v14
	v_exp_f32_e32 v7, v7
	v_and_b32_e32 v8, 0x80000000, v8
	v_ldexp_f32 v7, v7, v9
	v_and_b32_e32 v9, 1, v6
	v_lshlrev_b32_e32 v6, 30, v6
	v_cndmask_b32_e32 v7, 0, v7, vcc_lo
	v_cmp_nlt_f32_e32 vcc_lo, 0x42b17218, v4
	v_and_or_b32 v3, 0x80000000, v6, v3
	v_fmaak_f32 v6, v10, v12, 0x3d2aabf7
	v_fmaak_f32 v12, v10, v13, 0xbe2aaa9d
	v_cndmask_b32_e32 v4, 0x7f800000, v7, vcc_lo
	v_fmaak_f32 v7, s4, v11, 0xbab64f3b
	v_fmaak_f32 v6, v10, v6, 0xbf000004
	v_mul_f32_e32 v12, v10, v12
	v_cmp_eq_u32_e32 vcc_lo, 0, v2
	v_lshrrev_b32_e32 v13, 23, v4
	v_fmaak_f32 v7, v11, v7, 0x3d2aabf7
	v_fma_f32 v6, v10, v6, 1.0
	v_fmac_f32_e32 v0, v0, v12
	s_mov_b32 s4, 0x7fffff
	v_subrev_nc_u32_e32 v13, 19, v13
	v_fmaak_f32 v7, v11, v7, 0xbf000004
	v_cndmask_b32_e64 v0, -v0, v6, vcc_lo
	v_cmp_eq_u32_e32 vcc_lo, 0, v9
	v_lshrrev_b16 v10, 15, v13
	v_fma_f32 v7, v11, v7, 1.0
	v_xor_b32_e32 v0, v8, v0
	v_add_nc_u16 v2, v13, v10
	v_cndmask_b32_e32 v5, v7, v5, vcc_lo
	v_cmp_class_f32_e64 vcc_lo, v1, 0x1f8
	v_ashrrev_i16 v2, 1, v2
	v_xor3_b32 v3, v3, v5, v1
	v_cndmask_b32_e32 v0, 0x7fc00000, v0, vcc_lo
	v_and_or_b32 v1, v4, s4, 0x7f000000
	v_bfe_i32 v2, v2, 0, 16
	v_cndmask_b32_e32 v3, 0x7fc00000, v3, vcc_lo
	v_mul_f32_e32 v0, v0, v1
	v_lshl_add_u32 v4, v2, 23, 1.0
	v_sub_nc_u32_e32 v2, v13, v2
	v_mul_f32_e32 v1, v3, v1
	v_mul_f32_e32 v0, v0, v4
	v_lshl_add_u32 v2, v2, 23, 1.0
	v_mul_f32_e32 v1, v1, v4
	v_mul_f32_e32 v0, v0, v2
	;; [unrolled: 1-line block ×3, first 2 shown]
	s_or_b32 exec_lo, exec_lo, s9
                                        ; implicit-def: $vgpr4
                                        ; implicit-def: $vgpr2
.LBB39_60:
	s_andn2_saveexec_b32 s4, s8
	s_cbranch_execz .LBB39_66
.LBB39_61:
	v_sub_f32_e32 v1, v1, v1
	s_mov_b32 s5, exec_lo
	v_cmpx_ne_u32_e32 0x7f800000, v2
	s_xor_b32 s5, exec_lo, s5
; %bb.62:
                                        ; implicit-def: $vgpr4
; %bb.63:
	s_or_saveexec_b32 s5, s5
	v_mov_b32_e32 v0, v1
	s_xor_b32 exec_lo, exec_lo, s5
; %bb.64:
	v_cmp_lt_i32_e32 vcc_lo, -1, v4
	v_cndmask_b32_e32 v0, 0, v4, vcc_lo
	v_cndmask_b32_e32 v1, 0, v1, vcc_lo
; %bb.65:
	s_or_b32 exec_lo, exec_lo, s5
.LBB39_66:
	s_or_b32 exec_lo, exec_lo, s4
                                        ; implicit-def: $vgpr3
.LBB39_67:
	s_andn2_saveexec_b32 s7, s7
	s_cbranch_execz .LBB39_77
; %bb.68:
	v_cmp_ngt_f32_e64 s8, 0x48000000, |v1|
	v_lshrrev_b32_e32 v4, 23, v3
                                        ; implicit-def: $vgpr2
                                        ; implicit-def: $vgpr0
	s_and_saveexec_b32 s4, s8
	s_xor_b32 s9, exec_lo, s4
	s_cbranch_execz .LBB39_70
; %bb.69:
	s_mov_b32 s4, 0x7fffff
	v_mov_b32_e32 v7, 0
	v_and_or_b32 v0, v3, s4, 0x800000
	v_add_nc_u32_e32 v2, 0xffffff88, v4
	v_mad_u64_u32 v[5:6], null, 0xfe5163ab, v0, 0
	v_cmp_lt_u32_e32 vcc_lo, 63, v2
	v_cndmask_b32_e64 v13, 0, 0xffffffc0, vcc_lo
	v_mad_u64_u32 v[8:9], null, 0x3c439041, v0, v[6:7]
	v_add_nc_u32_e32 v2, v13, v2
	v_mov_b32_e32 v6, v9
	v_cmp_lt_u32_e64 s4, 31, v2
	v_mad_u64_u32 v[9:10], null, 0xdb629599, v0, v[6:7]
	v_cndmask_b32_e64 v14, 0, 0xffffffe0, s4
	v_add_nc_u32_e32 v2, v14, v2
	v_mov_b32_e32 v6, v10
	v_cndmask_b32_e32 v5, v9, v5, vcc_lo
	v_cmp_lt_u32_e64 s5, 31, v2
	v_mad_u64_u32 v[10:11], null, 0xf534ddc0, v0, v[6:7]
	v_mov_b32_e32 v6, v11
	v_mad_u64_u32 v[11:12], null, 0xfc2757d1, v0, v[6:7]
	v_mov_b32_e32 v6, v12
	;; [unrolled: 2-line block ×3, first 2 shown]
	v_cndmask_b32_e32 v13, v12, v10, vcc_lo
	v_mad_u64_u32 v[6:7], null, 0xa2f9836e, v0, v[6:7]
	v_cndmask_b32_e64 v0, 0, 0xffffffe0, s5
	v_add_nc_u32_e32 v0, v0, v2
	v_cndmask_b32_e32 v6, v6, v11, vcc_lo
	v_cndmask_b32_e32 v7, v7, v12, vcc_lo
	v_cndmask_b32_e32 v11, v11, v9, vcc_lo
	v_cndmask_b32_e32 v2, v10, v8, vcc_lo
	v_sub_nc_u32_e32 v10, 32, v0
	v_cndmask_b32_e64 v8, v6, v13, s4
	v_cndmask_b32_e64 v6, v7, v6, s4
	;; [unrolled: 1-line block ×4, first 2 shown]
	v_cmp_eq_u32_e32 vcc_lo, 0, v0
	v_cndmask_b32_e64 v2, v2, v5, s4
	v_cndmask_b32_e64 v6, v6, v8, s5
	;; [unrolled: 1-line block ×5, first 2 shown]
	v_alignbit_b32 v12, v6, v8, v10
	v_alignbit_b32 v9, v8, v7, v10
	;; [unrolled: 1-line block ×3, first 2 shown]
	v_cndmask_b32_e32 v0, v12, v6, vcc_lo
	v_cndmask_b32_e32 v5, v9, v8, vcc_lo
	;; [unrolled: 1-line block ×3, first 2 shown]
	v_bfe_u32 v6, v0, 29, 1
	v_alignbit_b32 v8, v0, v5, 30
	v_alignbit_b32 v5, v5, v7, 30
	;; [unrolled: 1-line block ×3, first 2 shown]
	v_sub_nc_u32_e32 v9, 0, v6
	v_xor_b32_e32 v8, v8, v9
	v_xor_b32_e32 v5, v5, v9
	;; [unrolled: 1-line block ×3, first 2 shown]
	v_lshrrev_b32_e32 v9, 29, v0
	v_ffbh_u32_e32 v10, v8
	v_min_u32_e32 v10, 32, v10
	v_sub_nc_u32_e32 v7, 31, v10
	v_lshlrev_b32_e32 v11, 23, v10
	v_alignbit_b32 v8, v8, v5, v7
	v_alignbit_b32 v2, v5, v2, v7
	v_lshlrev_b32_e32 v5, 31, v9
	v_alignbit_b32 v7, v8, v2, 9
	v_or_b32_e32 v9, 0.5, v5
	v_lshrrev_b32_e32 v8, 9, v8
	v_or_b32_e32 v5, 0x33000000, v5
	v_ffbh_u32_e32 v12, v7
	v_sub_nc_u32_e32 v9, v9, v11
	v_min_u32_e32 v11, 32, v12
	v_or_b32_e32 v8, v8, v9
	v_not_b32_e32 v9, v11
	v_mul_f32_e32 v12, 0x3fc90fda, v8
	v_add_lshl_u32 v10, v11, v10, 23
	v_alignbit_b32 v2, v7, v2, v9
	v_fma_f32 v7, 0x3fc90fda, v8, -v12
	v_sub_nc_u32_e32 v5, v5, v10
	v_lshrrev_b32_e32 v2, 9, v2
	v_fmamk_f32 v7, v8, 0x33a22168, v7
	v_or_b32_e32 v2, v5, v2
	v_fmac_f32_e32 v7, 0x3fc90fda, v2
	v_lshrrev_b32_e32 v2, 30, v0
	v_add_f32_e32 v0, v12, v7
	v_add_nc_u32_e32 v2, v6, v2
	s_or_saveexec_b32 s4, s9
	v_mul_f32_e64 v7, 0x3f22f983, |v1|
	s_xor_b32 exec_lo, exec_lo, s4
	s_branch .LBB39_71
.LBB39_70:
	s_or_saveexec_b32 s4, s9
	v_mul_f32_e64 v7, 0x3f22f983, |v1|
	s_xor_b32 exec_lo, exec_lo, s4
.LBB39_71:
	v_rndne_f32_e32 v2, v7
	v_fma_f32 v0, 0xbfc90fda, v2, |v1|
	v_fmamk_f32 v0, v2, 0xb3a22168, v0
	v_fmamk_f32 v0, v2, 0xa7c234c4, v0
	v_cvt_i32_f32_e32 v2, v2
; %bb.72:
	s_or_b32 exec_lo, exec_lo, s4
                                        ; implicit-def: $vgpr6
                                        ; implicit-def: $vgpr5
	s_and_saveexec_b32 s4, s8
	s_xor_b32 s8, exec_lo, s4
	s_cbranch_execz .LBB39_74
; %bb.73:
	s_mov_b32 s4, 0x7fffff
	v_mov_b32_e32 v7, 0
	v_and_or_b32 v14, v3, s4, 0x800000
	v_add_nc_u32_e32 v4, 0xffffff88, v4
	v_mad_u64_u32 v[5:6], null, 0xfe5163ab, v14, 0
	v_cmp_lt_u32_e32 vcc_lo, 63, v4
	v_cndmask_b32_e64 v13, 0, 0xffffffc0, vcc_lo
	v_mad_u64_u32 v[8:9], null, 0x3c439041, v14, v[6:7]
	v_add_nc_u32_e32 v4, v13, v4
	v_mov_b32_e32 v6, v9
	v_cmp_lt_u32_e64 s4, 31, v4
	v_mad_u64_u32 v[9:10], null, 0xdb629599, v14, v[6:7]
	v_cndmask_b32_e64 v15, 0, 0xffffffe0, s4
	v_add_nc_u32_e32 v4, v15, v4
	v_mov_b32_e32 v6, v10
	v_cndmask_b32_e32 v5, v9, v5, vcc_lo
	v_cmp_lt_u32_e64 s5, 31, v4
	v_mad_u64_u32 v[10:11], null, 0xf534ddc0, v14, v[6:7]
	v_mov_b32_e32 v6, v11
	v_cndmask_b32_e32 v8, v10, v8, vcc_lo
	v_mad_u64_u32 v[11:12], null, 0xfc2757d1, v14, v[6:7]
	v_cndmask_b32_e64 v5, v8, v5, s4
	v_mov_b32_e32 v6, v12
	v_mad_u64_u32 v[12:13], null, 0x4e441529, v14, v[6:7]
	v_mov_b32_e32 v6, v13
	v_cndmask_b32_e64 v13, 0, 0xffffffe0, s5
	v_mad_u64_u32 v[6:7], null, 0xa2f9836e, v14, v[6:7]
	v_cndmask_b32_e32 v14, v12, v10, vcc_lo
	v_add_nc_u32_e32 v4, v13, v4
	v_cndmask_b32_e32 v6, v6, v11, vcc_lo
	v_cndmask_b32_e32 v7, v7, v12, vcc_lo
	v_cndmask_b32_e32 v11, v11, v9, vcc_lo
	v_sub_nc_u32_e32 v12, 32, v4
	v_cmp_eq_u32_e32 vcc_lo, 0, v4
	v_cndmask_b32_e64 v10, v6, v14, s4
	v_cndmask_b32_e64 v6, v7, v6, s4
	;; [unrolled: 1-line block ×8, first 2 shown]
	v_alignbit_b32 v13, v6, v10, v12
	v_alignbit_b32 v9, v10, v7, v12
	;; [unrolled: 1-line block ×3, first 2 shown]
	v_cndmask_b32_e32 v4, v13, v6, vcc_lo
	v_cndmask_b32_e32 v6, v9, v10, vcc_lo
	;; [unrolled: 1-line block ×3, first 2 shown]
	v_bfe_u32 v8, v4, 29, 1
	v_alignbit_b32 v9, v4, v6, 30
	v_alignbit_b32 v6, v6, v7, 30
	;; [unrolled: 1-line block ×3, first 2 shown]
	v_sub_nc_u32_e32 v10, 0, v8
	v_xor_b32_e32 v9, v9, v10
	v_xor_b32_e32 v6, v6, v10
	;; [unrolled: 1-line block ×3, first 2 shown]
	v_lshrrev_b32_e32 v10, 29, v4
	v_lshrrev_b32_e32 v4, 30, v4
	v_ffbh_u32_e32 v11, v9
	v_min_u32_e32 v11, 32, v11
	v_sub_nc_u32_e32 v7, 31, v11
	v_lshlrev_b32_e32 v12, 23, v11
	v_alignbit_b32 v9, v9, v6, v7
	v_alignbit_b32 v5, v6, v5, v7
	v_lshlrev_b32_e32 v6, 31, v10
	v_alignbit_b32 v7, v9, v5, 9
	v_or_b32_e32 v10, 0.5, v6
	v_lshrrev_b32_e32 v9, 9, v9
	v_or_b32_e32 v6, 0x33000000, v6
	v_ffbh_u32_e32 v13, v7
	v_sub_nc_u32_e32 v10, v10, v12
	v_min_u32_e32 v12, 32, v13
	v_or_b32_e32 v9, v9, v10
	v_not_b32_e32 v10, v12
	v_mul_f32_e32 v13, 0x3fc90fda, v9
	v_add_lshl_u32 v11, v12, v11, 23
	v_alignbit_b32 v5, v7, v5, v10
	v_fma_f32 v7, 0x3fc90fda, v9, -v13
	v_sub_nc_u32_e32 v6, v6, v11
	v_lshrrev_b32_e32 v5, 9, v5
	v_fmamk_f32 v7, v9, 0x33a22168, v7
	v_or_b32_e32 v5, v6, v5
	v_add_nc_u32_e32 v6, v8, v4
	v_fmac_f32_e32 v7, 0x3fc90fda, v5
	v_add_f32_e32 v5, v13, v7
                                        ; implicit-def: $vgpr7
	s_andn2_saveexec_b32 s4, s8
	s_cbranch_execnz .LBB39_75
	s_branch .LBB39_76
.LBB39_74:
	s_andn2_saveexec_b32 s4, s8
.LBB39_75:
	v_rndne_f32_e32 v4, v7
	v_fma_f32 v5, 0xbfc90fda, v4, |v1|
	v_cvt_i32_f32_e32 v6, v4
	v_fmamk_f32 v5, v4, 0xb3a22168, v5
	v_fmamk_f32 v5, v4, 0xa7c234c4, v5
.LBB39_76:
	s_or_b32 exec_lo, exec_lo, s4
	v_mul_f32_e32 v4, v0, v0
	s_mov_b32 s4, 0xb94c1982
	s_mov_b32 s5, 0x37d75334
	v_mul_f32_e32 v7, v5, v5
	v_and_b32_e32 v10, 1, v2
	v_fmaak_f32 v8, s4, v4, 0x3c0881c4
	v_fmaak_f32 v9, s5, v4, 0xbab64f3b
	v_and_b32_e32 v13, 1, v6
	v_fmaak_f32 v11, s4, v7, 0x3c0881c4
	v_fmaak_f32 v12, s5, v7, 0xbab64f3b
	;; [unrolled: 1-line block ×4, first 2 shown]
	v_cmp_eq_u32_e32 vcc_lo, 0, v10
	v_fmaak_f32 v11, v7, v11, 0xbe2aaa9d
	v_fmaak_f32 v12, v7, v12, 0x3d2aabf7
	v_mul_f32_e32 v8, v4, v8
	v_fmaak_f32 v9, v4, v9, 0xbf000004
	v_lshlrev_b32_e32 v2, 30, v2
	v_mul_f32_e32 v11, v7, v11
	v_fmaak_f32 v12, v7, v12, 0xbf000004
	v_fmac_f32_e32 v0, v0, v8
	v_fma_f32 v4, v4, v9, 1.0
	v_lshlrev_b32_e32 v6, 30, v6
	v_fmac_f32_e32 v5, v5, v11
	v_fma_f32 v7, v7, v12, 1.0
	v_and_b32_e32 v2, 0x80000000, v2
	v_cndmask_b32_e64 v0, -v0, v4, vcc_lo
	v_cmp_eq_u32_e32 vcc_lo, 0, v13
	v_and_or_b32 v3, 0x80000000, v6, v3
	v_xor_b32_e32 v0, v2, v0
	v_cndmask_b32_e32 v4, v7, v5, vcc_lo
	v_cmp_class_f32_e64 vcc_lo, v1, 0x1f8
	v_xor3_b32 v2, v3, v4, v1
	v_cndmask_b32_e32 v0, 0x7fc00000, v0, vcc_lo
	v_cndmask_b32_e32 v1, 0x7fc00000, v2, vcc_lo
.LBB39_77:
	s_or_b32 exec_lo, exec_lo, s7
                                        ; implicit-def: $vgpr4
	s_andn2_saveexec_b32 s4, s6
	s_cbranch_execnz .LBB39_41
.LBB39_78:
	s_or_b32 exec_lo, exec_lo, s4
	s_setpc_b64 s[30:31]
.Lfunc_end39:
	.size	_ZN16c10_complex_math3powIfEEN3c107complexIT_EERKS4_S6_, .Lfunc_end39-_ZN16c10_complex_math3powIfEEN3c107complexIT_EERKS4_S6_
                                        ; -- End function
	.set .L_ZN16c10_complex_math3powIfEEN3c107complexIT_EERKS4_S6_.num_vgpr, 23
	.set .L_ZN16c10_complex_math3powIfEEN3c107complexIT_EERKS4_S6_.num_agpr, 0
	.set .L_ZN16c10_complex_math3powIfEEN3c107complexIT_EERKS4_S6_.numbered_sgpr, 32
	.set .L_ZN16c10_complex_math3powIfEEN3c107complexIT_EERKS4_S6_.num_named_barrier, 0
	.set .L_ZN16c10_complex_math3powIfEEN3c107complexIT_EERKS4_S6_.private_seg_size, 0
	.set .L_ZN16c10_complex_math3powIfEEN3c107complexIT_EERKS4_S6_.uses_vcc, 1
	.set .L_ZN16c10_complex_math3powIfEEN3c107complexIT_EERKS4_S6_.uses_flat_scratch, 0
	.set .L_ZN16c10_complex_math3powIfEEN3c107complexIT_EERKS4_S6_.has_dyn_sized_stack, 0
	.set .L_ZN16c10_complex_math3powIfEEN3c107complexIT_EERKS4_S6_.has_recursion, 0
	.set .L_ZN16c10_complex_math3powIfEEN3c107complexIT_EERKS4_S6_.has_indirect_call, 0
	.section	.AMDGPU.csdata,"",@progbits
; Function info:
; codeLenInByte = 10100
; TotalNumSgprs: 34
; NumVgprs: 23
; ScratchSize: 0
; MemoryBound: 0
	.section	.text._ZN12_GLOBAL__N_141elementwise_kernel_with_index_grid_strideIiZZZN2at6native17logspace_cuda_outERKN3c106ScalarES6_ldRNS1_6TensorEENKUlvE0_clEvENKUlvE2_clEvEUllE_EEvT_T0_PN15function_traitsISD_E11result_typeE,"axG",@progbits,_ZN12_GLOBAL__N_141elementwise_kernel_with_index_grid_strideIiZZZN2at6native17logspace_cuda_outERKN3c106ScalarES6_ldRNS1_6TensorEENKUlvE0_clEvENKUlvE2_clEvEUllE_EEvT_T0_PN15function_traitsISD_E11result_typeE,comdat
	.globl	_ZN12_GLOBAL__N_141elementwise_kernel_with_index_grid_strideIiZZZN2at6native17logspace_cuda_outERKN3c106ScalarES6_ldRNS1_6TensorEENKUlvE0_clEvENKUlvE2_clEvEUllE_EEvT_T0_PN15function_traitsISD_E11result_typeE ; -- Begin function _ZN12_GLOBAL__N_141elementwise_kernel_with_index_grid_strideIiZZZN2at6native17logspace_cuda_outERKN3c106ScalarES6_ldRNS1_6TensorEENKUlvE0_clEvENKUlvE2_clEvEUllE_EEvT_T0_PN15function_traitsISD_E11result_typeE
	.p2align	8
	.type	_ZN12_GLOBAL__N_141elementwise_kernel_with_index_grid_strideIiZZZN2at6native17logspace_cuda_outERKN3c106ScalarES6_ldRNS1_6TensorEENKUlvE0_clEvENKUlvE2_clEvEUllE_EEvT_T0_PN15function_traitsISD_E11result_typeE,@function
_ZN12_GLOBAL__N_141elementwise_kernel_with_index_grid_strideIiZZZN2at6native17logspace_cuda_outERKN3c106ScalarES6_ldRNS1_6TensorEENKUlvE0_clEvENKUlvE2_clEvEUllE_EEvT_T0_PN15function_traitsISD_E11result_typeE: ; @_ZN12_GLOBAL__N_141elementwise_kernel_with_index_grid_strideIiZZZN2at6native17logspace_cuda_outERKN3c106ScalarES6_ldRNS1_6TensorEENKUlvE0_clEvENKUlvE2_clEvEUllE_EEvT_T0_PN15function_traitsISD_E11result_typeE
; %bb.0:
	s_add_u32 s0, s0, s7
	s_clause 0x1
	s_load_dword s7, s[4:5], 0x4c
	s_load_dword s33, s[4:5], 0x0
	s_addc_u32 s1, s1, 0
	s_add_u32 s8, s4, 64
	s_addc_u32 s9, s5, 0
	s_mov_b32 s32, 0
	s_waitcnt lgkmcnt(0)
	s_and_b32 s7, s7, 0xffff
	v_mad_u64_u32 v[23:24], null, s6, s7, v[0:1]
	s_mov_b32 s6, exec_lo
	v_cmpx_gt_i32_e64 s33, v23
	s_cbranch_execz .LBB40_7
; %bb.1:
	s_load_dword s6, s[8:9], 0x0
	s_clause 0x1
	s_load_dwordx8 s[20:27], s[4:5], 0x8
	s_load_dwordx4 s[28:31], s[4:5], 0x30
	v_ashrrev_i32_e32 v24, 31, v23
	s_load_dwordx2 s[34:35], s[4:5], 0x28
	v_not_b32_e32 v2, v23
	s_mov_b32 s38, 0
	v_lshlrev_b64 v[0:1], 3, v[23:24]
	v_not_b32_e32 v3, v24
	s_waitcnt lgkmcnt(0)
	s_mul_i32 s36, s6, s7
	v_add_co_u32 v25, vcc_lo, v2, s26
	v_add_co_ci_u32_e64 v26, null, s27, v3, vcc_lo
	v_add_co_u32 v0, vcc_lo, s30, v0
	v_add_co_ci_u32_e64 v1, null, s31, v1, vcc_lo
	s_ashr_i32 s37, s36, 31
	v_add_co_u32 v27, vcc_lo, v0, 4
	v_add_co_ci_u32_e64 v28, null, 0, v1, vcc_lo
	s_lshl_b64 s[26:27], s[36:37], 3
	s_branch .LBB40_3
.LBB40_2:                               ;   in Loop: Header=BB40_3 Depth=1
	s_or_b32 exec_lo, exec_lo, s39
	v_add_co_u32 v23, vcc_lo, v23, s36
	v_add_co_ci_u32_e64 v24, null, s37, v24, vcc_lo
	v_sub_co_u32 v25, vcc_lo, v25, s36
	global_store_dwordx2 v[27:28], v[0:1], off offset:-4
	v_subrev_co_ci_u32_e64 v26, null, s37, v26, vcc_lo
	v_cmp_le_i32_e32 vcc_lo, s33, v23
	v_add_co_u32 v27, s4, v27, s26
	v_add_co_ci_u32_e64 v28, null, s27, v28, s4
	s_or_b32 s38, vcc_lo, s38
	s_andn2_b32 exec_lo, exec_lo, s38
	s_cbranch_execz .LBB40_7
.LBB40_3:                               ; =>This Inner Loop Header: Depth=1
                                        ; implicit-def: $vgpr0
	s_mov_b32 s4, exec_lo
	v_cmpx_le_i64_e64 s[28:29], v[23:24]
	s_xor_b32 s39, exec_lo, s4
	s_cbranch_execz .LBB40_5
; %bb.4:                                ;   in Loop: Header=BB40_3 Depth=1
	v_xor_b32_e32 v0, v25, v26
	v_ffbh_i32_e32 v1, v26
	s_getpc_b64 s[4:5]
	s_add_u32 s4, s4, _ZN16c10_complex_math3powIfEEN3c107complexIT_EERKS4_S6_@rel32@lo+4
	s_addc_u32 s5, s5, _ZN16c10_complex_math3powIfEEN3c107complexIT_EERKS4_S6_@rel32@hi+12
	v_ashrrev_i32_e32 v0, 31, v0
	v_add_nc_u32_e32 v1, -1, v1
	v_add_nc_u32_e32 v0, 32, v0
	v_min_u32_e32 v2, v1, v0
	v_lshlrev_b64 v[0:1], v2, v[25:26]
	v_min_u32_e32 v0, 1, v0
	v_or_b32_e32 v0, v1, v0
	v_sub_nc_u32_e32 v1, 32, v2
	v_cvt_f32_i32_e32 v0, v0
	v_ldexp_f32 v0, v0, v1
	v_mov_b32_e32 v1, s25
	v_fma_f32 v2, -s34, v0, s22
	v_fma_f32 v3, -s35, v0, s23
	v_mov_b32_e32 v0, s24
	s_swappc_b64 s[30:31], s[4:5]
.LBB40_5:                               ;   in Loop: Header=BB40_3 Depth=1
	s_andn2_saveexec_b32 s39, s39
	s_cbranch_execz .LBB40_2
; %bb.6:                                ;   in Loop: Header=BB40_3 Depth=1
	v_cvt_f32_i32_e32 v0, v23
	v_mov_b32_e32 v1, s25
	s_getpc_b64 s[4:5]
	s_add_u32 s4, s4, _ZN16c10_complex_math3powIfEEN3c107complexIT_EERKS4_S6_@rel32@lo+4
	s_addc_u32 s5, s5, _ZN16c10_complex_math3powIfEEN3c107complexIT_EERKS4_S6_@rel32@hi+12
	v_fma_f32 v2, s34, v0, s20
	v_fma_f32 v3, s35, v0, s21
	v_mov_b32_e32 v0, s24
	s_swappc_b64 s[30:31], s[4:5]
	s_branch .LBB40_2
.LBB40_7:
	s_endpgm
	.section	.rodata,"a",@progbits
	.p2align	6, 0x0
	.amdhsa_kernel _ZN12_GLOBAL__N_141elementwise_kernel_with_index_grid_strideIiZZZN2at6native17logspace_cuda_outERKN3c106ScalarES6_ldRNS1_6TensorEENKUlvE0_clEvENKUlvE2_clEvEUllE_EEvT_T0_PN15function_traitsISD_E11result_typeE
		.amdhsa_group_segment_fixed_size 0
		.amdhsa_private_segment_fixed_size 0
		.amdhsa_kernarg_size 320
		.amdhsa_user_sgpr_count 6
		.amdhsa_user_sgpr_private_segment_buffer 1
		.amdhsa_user_sgpr_dispatch_ptr 0
		.amdhsa_user_sgpr_queue_ptr 0
		.amdhsa_user_sgpr_kernarg_segment_ptr 1
		.amdhsa_user_sgpr_dispatch_id 0
		.amdhsa_user_sgpr_flat_scratch_init 0
		.amdhsa_user_sgpr_private_segment_size 0
		.amdhsa_wavefront_size32 1
		.amdhsa_uses_dynamic_stack 0
		.amdhsa_system_sgpr_private_segment_wavefront_offset 0
		.amdhsa_system_sgpr_workgroup_id_x 1
		.amdhsa_system_sgpr_workgroup_id_y 0
		.amdhsa_system_sgpr_workgroup_id_z 0
		.amdhsa_system_sgpr_workgroup_info 0
		.amdhsa_system_vgpr_workitem_id 0
		.amdhsa_next_free_vgpr 29
		.amdhsa_next_free_sgpr 40
		.amdhsa_reserve_vcc 1
		.amdhsa_reserve_flat_scratch 0
		.amdhsa_float_round_mode_32 0
		.amdhsa_float_round_mode_16_64 0
		.amdhsa_float_denorm_mode_32 3
		.amdhsa_float_denorm_mode_16_64 3
		.amdhsa_dx10_clamp 1
		.amdhsa_ieee_mode 1
		.amdhsa_fp16_overflow 0
		.amdhsa_workgroup_processor_mode 1
		.amdhsa_memory_ordered 1
		.amdhsa_forward_progress 1
		.amdhsa_shared_vgpr_count 0
		.amdhsa_exception_fp_ieee_invalid_op 0
		.amdhsa_exception_fp_denorm_src 0
		.amdhsa_exception_fp_ieee_div_zero 0
		.amdhsa_exception_fp_ieee_overflow 0
		.amdhsa_exception_fp_ieee_underflow 0
		.amdhsa_exception_fp_ieee_inexact 0
		.amdhsa_exception_int_div_zero 0
	.end_amdhsa_kernel
	.section	.text._ZN12_GLOBAL__N_141elementwise_kernel_with_index_grid_strideIiZZZN2at6native17logspace_cuda_outERKN3c106ScalarES6_ldRNS1_6TensorEENKUlvE0_clEvENKUlvE2_clEvEUllE_EEvT_T0_PN15function_traitsISD_E11result_typeE,"axG",@progbits,_ZN12_GLOBAL__N_141elementwise_kernel_with_index_grid_strideIiZZZN2at6native17logspace_cuda_outERKN3c106ScalarES6_ldRNS1_6TensorEENKUlvE0_clEvENKUlvE2_clEvEUllE_EEvT_T0_PN15function_traitsISD_E11result_typeE,comdat
.Lfunc_end40:
	.size	_ZN12_GLOBAL__N_141elementwise_kernel_with_index_grid_strideIiZZZN2at6native17logspace_cuda_outERKN3c106ScalarES6_ldRNS1_6TensorEENKUlvE0_clEvENKUlvE2_clEvEUllE_EEvT_T0_PN15function_traitsISD_E11result_typeE, .Lfunc_end40-_ZN12_GLOBAL__N_141elementwise_kernel_with_index_grid_strideIiZZZN2at6native17logspace_cuda_outERKN3c106ScalarES6_ldRNS1_6TensorEENKUlvE0_clEvENKUlvE2_clEvEUllE_EEvT_T0_PN15function_traitsISD_E11result_typeE
                                        ; -- End function
	.set _ZN12_GLOBAL__N_141elementwise_kernel_with_index_grid_strideIiZZZN2at6native17logspace_cuda_outERKN3c106ScalarES6_ldRNS1_6TensorEENKUlvE0_clEvENKUlvE2_clEvEUllE_EEvT_T0_PN15function_traitsISD_E11result_typeE.num_vgpr, max(29, .L_ZN16c10_complex_math3powIfEEN3c107complexIT_EERKS4_S6_.num_vgpr)
	.set _ZN12_GLOBAL__N_141elementwise_kernel_with_index_grid_strideIiZZZN2at6native17logspace_cuda_outERKN3c106ScalarES6_ldRNS1_6TensorEENKUlvE0_clEvENKUlvE2_clEvEUllE_EEvT_T0_PN15function_traitsISD_E11result_typeE.num_agpr, max(0, .L_ZN16c10_complex_math3powIfEEN3c107complexIT_EERKS4_S6_.num_agpr)
	.set _ZN12_GLOBAL__N_141elementwise_kernel_with_index_grid_strideIiZZZN2at6native17logspace_cuda_outERKN3c106ScalarES6_ldRNS1_6TensorEENKUlvE0_clEvENKUlvE2_clEvEUllE_EEvT_T0_PN15function_traitsISD_E11result_typeE.numbered_sgpr, max(40, .L_ZN16c10_complex_math3powIfEEN3c107complexIT_EERKS4_S6_.numbered_sgpr)
	.set _ZN12_GLOBAL__N_141elementwise_kernel_with_index_grid_strideIiZZZN2at6native17logspace_cuda_outERKN3c106ScalarES6_ldRNS1_6TensorEENKUlvE0_clEvENKUlvE2_clEvEUllE_EEvT_T0_PN15function_traitsISD_E11result_typeE.num_named_barrier, max(0, .L_ZN16c10_complex_math3powIfEEN3c107complexIT_EERKS4_S6_.num_named_barrier)
	.set _ZN12_GLOBAL__N_141elementwise_kernel_with_index_grid_strideIiZZZN2at6native17logspace_cuda_outERKN3c106ScalarES6_ldRNS1_6TensorEENKUlvE0_clEvENKUlvE2_clEvEUllE_EEvT_T0_PN15function_traitsISD_E11result_typeE.private_seg_size, 0+max(.L_ZN16c10_complex_math3powIfEEN3c107complexIT_EERKS4_S6_.private_seg_size)
	.set _ZN12_GLOBAL__N_141elementwise_kernel_with_index_grid_strideIiZZZN2at6native17logspace_cuda_outERKN3c106ScalarES6_ldRNS1_6TensorEENKUlvE0_clEvENKUlvE2_clEvEUllE_EEvT_T0_PN15function_traitsISD_E11result_typeE.uses_vcc, or(1, .L_ZN16c10_complex_math3powIfEEN3c107complexIT_EERKS4_S6_.uses_vcc)
	.set _ZN12_GLOBAL__N_141elementwise_kernel_with_index_grid_strideIiZZZN2at6native17logspace_cuda_outERKN3c106ScalarES6_ldRNS1_6TensorEENKUlvE0_clEvENKUlvE2_clEvEUllE_EEvT_T0_PN15function_traitsISD_E11result_typeE.uses_flat_scratch, or(0, .L_ZN16c10_complex_math3powIfEEN3c107complexIT_EERKS4_S6_.uses_flat_scratch)
	.set _ZN12_GLOBAL__N_141elementwise_kernel_with_index_grid_strideIiZZZN2at6native17logspace_cuda_outERKN3c106ScalarES6_ldRNS1_6TensorEENKUlvE0_clEvENKUlvE2_clEvEUllE_EEvT_T0_PN15function_traitsISD_E11result_typeE.has_dyn_sized_stack, or(0, .L_ZN16c10_complex_math3powIfEEN3c107complexIT_EERKS4_S6_.has_dyn_sized_stack)
	.set _ZN12_GLOBAL__N_141elementwise_kernel_with_index_grid_strideIiZZZN2at6native17logspace_cuda_outERKN3c106ScalarES6_ldRNS1_6TensorEENKUlvE0_clEvENKUlvE2_clEvEUllE_EEvT_T0_PN15function_traitsISD_E11result_typeE.has_recursion, or(0, .L_ZN16c10_complex_math3powIfEEN3c107complexIT_EERKS4_S6_.has_recursion)
	.set _ZN12_GLOBAL__N_141elementwise_kernel_with_index_grid_strideIiZZZN2at6native17logspace_cuda_outERKN3c106ScalarES6_ldRNS1_6TensorEENKUlvE0_clEvENKUlvE2_clEvEUllE_EEvT_T0_PN15function_traitsISD_E11result_typeE.has_indirect_call, or(0, .L_ZN16c10_complex_math3powIfEEN3c107complexIT_EERKS4_S6_.has_indirect_call)
	.section	.AMDGPU.csdata,"",@progbits
; Kernel info:
; codeLenInByte = 472
; TotalNumSgprs: 42
; NumVgprs: 29
; ScratchSize: 0
; MemoryBound: 0
; FloatMode: 240
; IeeeMode: 1
; LDSByteSize: 0 bytes/workgroup (compile time only)
; SGPRBlocks: 0
; VGPRBlocks: 3
; NumSGPRsForWavesPerEU: 42
; NumVGPRsForWavesPerEU: 29
; Occupancy: 16
; WaveLimiterHint : 0
; COMPUTE_PGM_RSRC2:SCRATCH_EN: 0
; COMPUTE_PGM_RSRC2:USER_SGPR: 6
; COMPUTE_PGM_RSRC2:TRAP_HANDLER: 0
; COMPUTE_PGM_RSRC2:TGID_X_EN: 1
; COMPUTE_PGM_RSRC2:TGID_Y_EN: 0
; COMPUTE_PGM_RSRC2:TGID_Z_EN: 0
; COMPUTE_PGM_RSRC2:TIDIG_COMP_CNT: 0
	.section	.text._ZN12_GLOBAL__N_141elementwise_kernel_with_index_grid_strideIlZZZN2at6native17logspace_cuda_outERKN3c106ScalarES6_ldRNS1_6TensorEENKUlvE0_clEvENKUlvE2_clEvEUllE_EEvT_T0_PN15function_traitsISD_E11result_typeE,"axG",@progbits,_ZN12_GLOBAL__N_141elementwise_kernel_with_index_grid_strideIlZZZN2at6native17logspace_cuda_outERKN3c106ScalarES6_ldRNS1_6TensorEENKUlvE0_clEvENKUlvE2_clEvEUllE_EEvT_T0_PN15function_traitsISD_E11result_typeE,comdat
	.globl	_ZN12_GLOBAL__N_141elementwise_kernel_with_index_grid_strideIlZZZN2at6native17logspace_cuda_outERKN3c106ScalarES6_ldRNS1_6TensorEENKUlvE0_clEvENKUlvE2_clEvEUllE_EEvT_T0_PN15function_traitsISD_E11result_typeE ; -- Begin function _ZN12_GLOBAL__N_141elementwise_kernel_with_index_grid_strideIlZZZN2at6native17logspace_cuda_outERKN3c106ScalarES6_ldRNS1_6TensorEENKUlvE0_clEvENKUlvE2_clEvEUllE_EEvT_T0_PN15function_traitsISD_E11result_typeE
	.p2align	8
	.type	_ZN12_GLOBAL__N_141elementwise_kernel_with_index_grid_strideIlZZZN2at6native17logspace_cuda_outERKN3c106ScalarES6_ldRNS1_6TensorEENKUlvE0_clEvENKUlvE2_clEvEUllE_EEvT_T0_PN15function_traitsISD_E11result_typeE,@function
_ZN12_GLOBAL__N_141elementwise_kernel_with_index_grid_strideIlZZZN2at6native17logspace_cuda_outERKN3c106ScalarES6_ldRNS1_6TensorEENKUlvE0_clEvENKUlvE2_clEvEUllE_EEvT_T0_PN15function_traitsISD_E11result_typeE: ; @_ZN12_GLOBAL__N_141elementwise_kernel_with_index_grid_strideIlZZZN2at6native17logspace_cuda_outERKN3c106ScalarES6_ldRNS1_6TensorEENKUlvE0_clEvENKUlvE2_clEvEUllE_EEvT_T0_PN15function_traitsISD_E11result_typeE
; %bb.0:
	s_add_u32 s0, s0, s7
	s_clause 0x1
	s_load_dword s7, s[4:5], 0x4c
	s_load_dwordx2 s[34:35], s[4:5], 0x0
	v_mov_b32_e32 v1, 0
	s_addc_u32 s1, s1, 0
	s_add_u32 s8, s4, 64
	s_addc_u32 s9, s5, 0
	s_mov_b32 s32, 0
	s_waitcnt lgkmcnt(0)
	s_and_b32 s7, s7, 0xffff
	v_mad_u64_u32 v[23:24], null, s7, s6, v[0:1]
	s_mov_b32 s6, exec_lo
	v_cmpx_gt_i64_e64 s[34:35], v[23:24]
	s_cbranch_execz .LBB41_7
; %bb.1:
	s_load_dword s6, s[8:9], 0x0
	s_clause 0x2
	s_load_dwordx4 s[28:31], s[4:5], 0x30
	s_load_dwordx8 s[20:27], s[4:5], 0x8
	s_load_dwordx2 s[36:37], s[4:5], 0x28
	v_lshlrev_b64 v[0:1], 3, v[23:24]
	v_not_b32_e32 v3, v23
	v_not_b32_e32 v2, v24
	s_mov_b32 s33, 0
	s_waitcnt lgkmcnt(0)
	s_mul_hi_u32 s39, s7, s6
	v_add_co_u32 v0, vcc_lo, s30, v0
	v_add_co_ci_u32_e64 v1, null, s31, v1, vcc_lo
	v_add_co_u32 v25, vcc_lo, v3, s26
	v_add_co_ci_u32_e64 v26, null, s27, v2, vcc_lo
	;; [unrolled: 2-line block ×3, first 2 shown]
	s_mul_i32 s38, s7, s6
	s_lshl_b64 s[26:27], s[38:39], 3
	s_branch .LBB41_3
.LBB41_2:                               ;   in Loop: Header=BB41_3 Depth=1
	s_or_b32 exec_lo, exec_lo, s40
	v_add_co_u32 v23, vcc_lo, v23, s38
	v_add_co_ci_u32_e64 v24, null, s39, v24, vcc_lo
	v_sub_co_u32 v25, vcc_lo, v25, s38
	v_subrev_co_ci_u32_e64 v26, null, s39, v26, vcc_lo
	v_cmp_le_i64_e32 vcc_lo, s[34:35], v[23:24]
	global_store_dwordx2 v[27:28], v[0:1], off offset:-4
	v_add_co_u32 v27, s4, v27, s26
	v_add_co_ci_u32_e64 v28, null, s27, v28, s4
	s_or_b32 s33, vcc_lo, s33
	s_andn2_b32 exec_lo, exec_lo, s33
	s_cbranch_execz .LBB41_7
.LBB41_3:                               ; =>This Inner Loop Header: Depth=1
                                        ; implicit-def: $vgpr0
	s_mov_b32 s4, exec_lo
	v_cmpx_le_i64_e64 s[28:29], v[23:24]
	s_xor_b32 s40, exec_lo, s4
	s_cbranch_execz .LBB41_5
; %bb.4:                                ;   in Loop: Header=BB41_3 Depth=1
	v_xor_b32_e32 v0, v25, v26
	v_ffbh_i32_e32 v1, v26
	s_getpc_b64 s[4:5]
	s_add_u32 s4, s4, _ZN16c10_complex_math3powIfEEN3c107complexIT_EERKS4_S6_@rel32@lo+4
	s_addc_u32 s5, s5, _ZN16c10_complex_math3powIfEEN3c107complexIT_EERKS4_S6_@rel32@hi+12
	v_ashrrev_i32_e32 v0, 31, v0
	v_add_nc_u32_e32 v1, -1, v1
	v_add_nc_u32_e32 v0, 32, v0
	v_min_u32_e32 v2, v1, v0
	v_lshlrev_b64 v[0:1], v2, v[25:26]
	v_min_u32_e32 v0, 1, v0
	v_or_b32_e32 v0, v1, v0
	v_sub_nc_u32_e32 v1, 32, v2
	v_cvt_f32_i32_e32 v0, v0
	v_ldexp_f32 v0, v0, v1
	v_mov_b32_e32 v1, s25
	v_fma_f32 v2, -s36, v0, s22
	v_fma_f32 v3, -s37, v0, s23
	v_mov_b32_e32 v0, s24
	s_swappc_b64 s[30:31], s[4:5]
.LBB41_5:                               ;   in Loop: Header=BB41_3 Depth=1
	s_andn2_saveexec_b32 s40, s40
	s_cbranch_execz .LBB41_2
; %bb.6:                                ;   in Loop: Header=BB41_3 Depth=1
	v_ffbh_u32_e32 v0, v24
	s_getpc_b64 s[4:5]
	s_add_u32 s4, s4, _ZN16c10_complex_math3powIfEEN3c107complexIT_EERKS4_S6_@rel32@lo+4
	s_addc_u32 s5, s5, _ZN16c10_complex_math3powIfEEN3c107complexIT_EERKS4_S6_@rel32@hi+12
	v_min_u32_e32 v2, 32, v0
	v_lshlrev_b64 v[0:1], v2, v[23:24]
	v_min_u32_e32 v0, 1, v0
	v_or_b32_e32 v0, v1, v0
	v_sub_nc_u32_e32 v1, 32, v2
	v_cvt_f32_u32_e32 v0, v0
	v_ldexp_f32 v0, v0, v1
	v_mov_b32_e32 v1, s25
	v_fma_f32 v2, s36, v0, s20
	v_fma_f32 v3, s37, v0, s21
	v_mov_b32_e32 v0, s24
	s_swappc_b64 s[30:31], s[4:5]
	s_branch .LBB41_2
.LBB41_7:
	s_endpgm
	.section	.rodata,"a",@progbits
	.p2align	6, 0x0
	.amdhsa_kernel _ZN12_GLOBAL__N_141elementwise_kernel_with_index_grid_strideIlZZZN2at6native17logspace_cuda_outERKN3c106ScalarES6_ldRNS1_6TensorEENKUlvE0_clEvENKUlvE2_clEvEUllE_EEvT_T0_PN15function_traitsISD_E11result_typeE
		.amdhsa_group_segment_fixed_size 0
		.amdhsa_private_segment_fixed_size 0
		.amdhsa_kernarg_size 320
		.amdhsa_user_sgpr_count 6
		.amdhsa_user_sgpr_private_segment_buffer 1
		.amdhsa_user_sgpr_dispatch_ptr 0
		.amdhsa_user_sgpr_queue_ptr 0
		.amdhsa_user_sgpr_kernarg_segment_ptr 1
		.amdhsa_user_sgpr_dispatch_id 0
		.amdhsa_user_sgpr_flat_scratch_init 0
		.amdhsa_user_sgpr_private_segment_size 0
		.amdhsa_wavefront_size32 1
		.amdhsa_uses_dynamic_stack 0
		.amdhsa_system_sgpr_private_segment_wavefront_offset 0
		.amdhsa_system_sgpr_workgroup_id_x 1
		.amdhsa_system_sgpr_workgroup_id_y 0
		.amdhsa_system_sgpr_workgroup_id_z 0
		.amdhsa_system_sgpr_workgroup_info 0
		.amdhsa_system_vgpr_workitem_id 0
		.amdhsa_next_free_vgpr 29
		.amdhsa_next_free_sgpr 41
		.amdhsa_reserve_vcc 1
		.amdhsa_reserve_flat_scratch 0
		.amdhsa_float_round_mode_32 0
		.amdhsa_float_round_mode_16_64 0
		.amdhsa_float_denorm_mode_32 3
		.amdhsa_float_denorm_mode_16_64 3
		.amdhsa_dx10_clamp 1
		.amdhsa_ieee_mode 1
		.amdhsa_fp16_overflow 0
		.amdhsa_workgroup_processor_mode 1
		.amdhsa_memory_ordered 1
		.amdhsa_forward_progress 1
		.amdhsa_shared_vgpr_count 0
		.amdhsa_exception_fp_ieee_invalid_op 0
		.amdhsa_exception_fp_denorm_src 0
		.amdhsa_exception_fp_ieee_div_zero 0
		.amdhsa_exception_fp_ieee_overflow 0
		.amdhsa_exception_fp_ieee_underflow 0
		.amdhsa_exception_fp_ieee_inexact 0
		.amdhsa_exception_int_div_zero 0
	.end_amdhsa_kernel
	.section	.text._ZN12_GLOBAL__N_141elementwise_kernel_with_index_grid_strideIlZZZN2at6native17logspace_cuda_outERKN3c106ScalarES6_ldRNS1_6TensorEENKUlvE0_clEvENKUlvE2_clEvEUllE_EEvT_T0_PN15function_traitsISD_E11result_typeE,"axG",@progbits,_ZN12_GLOBAL__N_141elementwise_kernel_with_index_grid_strideIlZZZN2at6native17logspace_cuda_outERKN3c106ScalarES6_ldRNS1_6TensorEENKUlvE0_clEvENKUlvE2_clEvEUllE_EEvT_T0_PN15function_traitsISD_E11result_typeE,comdat
.Lfunc_end41:
	.size	_ZN12_GLOBAL__N_141elementwise_kernel_with_index_grid_strideIlZZZN2at6native17logspace_cuda_outERKN3c106ScalarES6_ldRNS1_6TensorEENKUlvE0_clEvENKUlvE2_clEvEUllE_EEvT_T0_PN15function_traitsISD_E11result_typeE, .Lfunc_end41-_ZN12_GLOBAL__N_141elementwise_kernel_with_index_grid_strideIlZZZN2at6native17logspace_cuda_outERKN3c106ScalarES6_ldRNS1_6TensorEENKUlvE0_clEvENKUlvE2_clEvEUllE_EEvT_T0_PN15function_traitsISD_E11result_typeE
                                        ; -- End function
	.set _ZN12_GLOBAL__N_141elementwise_kernel_with_index_grid_strideIlZZZN2at6native17logspace_cuda_outERKN3c106ScalarES6_ldRNS1_6TensorEENKUlvE0_clEvENKUlvE2_clEvEUllE_EEvT_T0_PN15function_traitsISD_E11result_typeE.num_vgpr, max(29, .L_ZN16c10_complex_math3powIfEEN3c107complexIT_EERKS4_S6_.num_vgpr)
	.set _ZN12_GLOBAL__N_141elementwise_kernel_with_index_grid_strideIlZZZN2at6native17logspace_cuda_outERKN3c106ScalarES6_ldRNS1_6TensorEENKUlvE0_clEvENKUlvE2_clEvEUllE_EEvT_T0_PN15function_traitsISD_E11result_typeE.num_agpr, max(0, .L_ZN16c10_complex_math3powIfEEN3c107complexIT_EERKS4_S6_.num_agpr)
	.set _ZN12_GLOBAL__N_141elementwise_kernel_with_index_grid_strideIlZZZN2at6native17logspace_cuda_outERKN3c106ScalarES6_ldRNS1_6TensorEENKUlvE0_clEvENKUlvE2_clEvEUllE_EEvT_T0_PN15function_traitsISD_E11result_typeE.numbered_sgpr, max(41, .L_ZN16c10_complex_math3powIfEEN3c107complexIT_EERKS4_S6_.numbered_sgpr)
	.set _ZN12_GLOBAL__N_141elementwise_kernel_with_index_grid_strideIlZZZN2at6native17logspace_cuda_outERKN3c106ScalarES6_ldRNS1_6TensorEENKUlvE0_clEvENKUlvE2_clEvEUllE_EEvT_T0_PN15function_traitsISD_E11result_typeE.num_named_barrier, max(0, .L_ZN16c10_complex_math3powIfEEN3c107complexIT_EERKS4_S6_.num_named_barrier)
	.set _ZN12_GLOBAL__N_141elementwise_kernel_with_index_grid_strideIlZZZN2at6native17logspace_cuda_outERKN3c106ScalarES6_ldRNS1_6TensorEENKUlvE0_clEvENKUlvE2_clEvEUllE_EEvT_T0_PN15function_traitsISD_E11result_typeE.private_seg_size, 0+max(.L_ZN16c10_complex_math3powIfEEN3c107complexIT_EERKS4_S6_.private_seg_size)
	.set _ZN12_GLOBAL__N_141elementwise_kernel_with_index_grid_strideIlZZZN2at6native17logspace_cuda_outERKN3c106ScalarES6_ldRNS1_6TensorEENKUlvE0_clEvENKUlvE2_clEvEUllE_EEvT_T0_PN15function_traitsISD_E11result_typeE.uses_vcc, or(1, .L_ZN16c10_complex_math3powIfEEN3c107complexIT_EERKS4_S6_.uses_vcc)
	.set _ZN12_GLOBAL__N_141elementwise_kernel_with_index_grid_strideIlZZZN2at6native17logspace_cuda_outERKN3c106ScalarES6_ldRNS1_6TensorEENKUlvE0_clEvENKUlvE2_clEvEUllE_EEvT_T0_PN15function_traitsISD_E11result_typeE.uses_flat_scratch, or(0, .L_ZN16c10_complex_math3powIfEEN3c107complexIT_EERKS4_S6_.uses_flat_scratch)
	.set _ZN12_GLOBAL__N_141elementwise_kernel_with_index_grid_strideIlZZZN2at6native17logspace_cuda_outERKN3c106ScalarES6_ldRNS1_6TensorEENKUlvE0_clEvENKUlvE2_clEvEUllE_EEvT_T0_PN15function_traitsISD_E11result_typeE.has_dyn_sized_stack, or(0, .L_ZN16c10_complex_math3powIfEEN3c107complexIT_EERKS4_S6_.has_dyn_sized_stack)
	.set _ZN12_GLOBAL__N_141elementwise_kernel_with_index_grid_strideIlZZZN2at6native17logspace_cuda_outERKN3c106ScalarES6_ldRNS1_6TensorEENKUlvE0_clEvENKUlvE2_clEvEUllE_EEvT_T0_PN15function_traitsISD_E11result_typeE.has_recursion, or(0, .L_ZN16c10_complex_math3powIfEEN3c107complexIT_EERKS4_S6_.has_recursion)
	.set _ZN12_GLOBAL__N_141elementwise_kernel_with_index_grid_strideIlZZZN2at6native17logspace_cuda_outERKN3c106ScalarES6_ldRNS1_6TensorEENKUlvE0_clEvENKUlvE2_clEvEUllE_EEvT_T0_PN15function_traitsISD_E11result_typeE.has_indirect_call, or(0, .L_ZN16c10_complex_math3powIfEEN3c107complexIT_EERKS4_S6_.has_indirect_call)
	.section	.AMDGPU.csdata,"",@progbits
; Kernel info:
; codeLenInByte = 508
; TotalNumSgprs: 43
; NumVgprs: 29
; ScratchSize: 0
; MemoryBound: 0
; FloatMode: 240
; IeeeMode: 1
; LDSByteSize: 0 bytes/workgroup (compile time only)
; SGPRBlocks: 0
; VGPRBlocks: 3
; NumSGPRsForWavesPerEU: 43
; NumVGPRsForWavesPerEU: 29
; Occupancy: 16
; WaveLimiterHint : 0
; COMPUTE_PGM_RSRC2:SCRATCH_EN: 0
; COMPUTE_PGM_RSRC2:USER_SGPR: 6
; COMPUTE_PGM_RSRC2:TRAP_HANDLER: 0
; COMPUTE_PGM_RSRC2:TGID_X_EN: 1
; COMPUTE_PGM_RSRC2:TGID_Y_EN: 0
; COMPUTE_PGM_RSRC2:TGID_Z_EN: 0
; COMPUTE_PGM_RSRC2:TIDIG_COMP_CNT: 0
	.section	.text._ZN12_GLOBAL__N_141elementwise_kernel_with_index_grid_strideIiZZZN2at6native17logspace_cuda_outERKN3c106ScalarES6_ldRNS1_6TensorEENKUlvE0_clEvENKUlvE3_clEvEUllE_EEvT_T0_PN15function_traitsISD_E11result_typeE,"axG",@progbits,_ZN12_GLOBAL__N_141elementwise_kernel_with_index_grid_strideIiZZZN2at6native17logspace_cuda_outERKN3c106ScalarES6_ldRNS1_6TensorEENKUlvE0_clEvENKUlvE3_clEvEUllE_EEvT_T0_PN15function_traitsISD_E11result_typeE,comdat
	.globl	_ZN12_GLOBAL__N_141elementwise_kernel_with_index_grid_strideIiZZZN2at6native17logspace_cuda_outERKN3c106ScalarES6_ldRNS1_6TensorEENKUlvE0_clEvENKUlvE3_clEvEUllE_EEvT_T0_PN15function_traitsISD_E11result_typeE ; -- Begin function _ZN12_GLOBAL__N_141elementwise_kernel_with_index_grid_strideIiZZZN2at6native17logspace_cuda_outERKN3c106ScalarES6_ldRNS1_6TensorEENKUlvE0_clEvENKUlvE3_clEvEUllE_EEvT_T0_PN15function_traitsISD_E11result_typeE
	.p2align	8
	.type	_ZN12_GLOBAL__N_141elementwise_kernel_with_index_grid_strideIiZZZN2at6native17logspace_cuda_outERKN3c106ScalarES6_ldRNS1_6TensorEENKUlvE0_clEvENKUlvE3_clEvEUllE_EEvT_T0_PN15function_traitsISD_E11result_typeE,@function
_ZN12_GLOBAL__N_141elementwise_kernel_with_index_grid_strideIiZZZN2at6native17logspace_cuda_outERKN3c106ScalarES6_ldRNS1_6TensorEENKUlvE0_clEvENKUlvE3_clEvEUllE_EEvT_T0_PN15function_traitsISD_E11result_typeE: ; @_ZN12_GLOBAL__N_141elementwise_kernel_with_index_grid_strideIiZZZN2at6native17logspace_cuda_outERKN3c106ScalarES6_ldRNS1_6TensorEENKUlvE0_clEvENKUlvE3_clEvEUllE_EEvT_T0_PN15function_traitsISD_E11result_typeE
; %bb.0:
	s_clause 0x1
	s_load_dword s2, s[4:5], 0x3c
	s_load_dword s3, s[4:5], 0x0
	s_add_u32 s0, s4, 48
	s_addc_u32 s1, s5, 0
	s_waitcnt lgkmcnt(0)
	s_and_b32 s2, s2, 0xffff
	v_mad_u64_u32 v[0:1], null, s6, s2, v[0:1]
	s_mov_b32 s6, exec_lo
	v_cmpx_gt_i32_e64 s3, v0
	s_cbranch_execz .LBB42_7
; %bb.1:
	s_load_dword s0, s[0:1], 0x0
	s_clause 0x2
	s_load_dwordx4 s[8:11], s[4:5], 0x8
	s_load_dwordx4 s[12:15], s[4:5], 0x20
	s_load_dword s16, s[4:5], 0x18
	v_ashrrev_i32_e32 v1, 31, v0
	v_not_b32_e32 v2, v0
	s_mov_b32 s17, 0
	v_lshlrev_b64 v[4:5], 1, v[0:1]
	v_not_b32_e32 v3, v1
	s_waitcnt lgkmcnt(0)
	s_mul_i32 s4, s0, s2
	v_add_co_u32 v2, vcc_lo, v2, s10
	v_add_co_ci_u32_e64 v3, null, s11, v3, vcc_lo
	v_add_co_u32 v4, vcc_lo, s14, v4
	v_cvt_f32_f16_e32 v6, s9
	v_cmp_eq_f16_e64 s9, s9, 1.0
	v_add_co_ci_u32_e64 v5, null, s15, v5, vcc_lo
	s_ashr_i32 s5, s4, 31
	s_lshr_b32 s10, s8, 16
	s_lshl_b64 s[6:7], s[4:5], 1
	s_mov_b32 s11, 0x3e76c4e1
	s_branch .LBB42_3
.LBB42_2:                               ;   in Loop: Header=BB42_3 Depth=1
	s_or_b32 exec_lo, exec_lo, s0
	v_cvt_f32_f16_e32 v7, v7
	v_cndmask_b32_e64 v9, v7, 1.0, s9
	v_cmp_neq_f32_e32 vcc_lo, 0, v9
	v_cmp_neq_f32_e64 s14, v9, |v9|
	v_cndmask_b32_e32 v10, 1.0, v6, vcc_lo
	v_frexp_mant_f32_e64 v7, |v10|
	v_cmp_lt_f32_e64 s15, |v10|, 1.0
	v_cmp_eq_f32_e64 s2, 0, v10
	v_cmp_gt_f32_e32 vcc_lo, 0x3f2aaaab, v7
	s_xor_b32 s14, s14, s15
	v_cndmask_b32_e64 v8, 1.0, 2.0, vcc_lo
	v_mul_f32_e32 v7, v7, v8
	v_add_f32_e32 v8, 1.0, v7
	v_add_f32_e32 v12, -1.0, v7
	v_rcp_f32_e32 v11, v8
	v_add_f32_e32 v14, -1.0, v8
	v_sub_f32_e32 v7, v7, v14
	v_mul_f32_e32 v13, v12, v11
	v_mul_f32_e32 v15, v8, v13
	v_fma_f32 v8, v13, v8, -v15
	v_fmac_f32_e32 v8, v13, v7
	v_add_f32_e32 v7, v15, v8
	v_sub_f32_e32 v14, v12, v7
	v_sub_f32_e32 v15, v7, v15
	;; [unrolled: 1-line block ×5, first 2 shown]
	v_add_f32_e32 v7, v8, v7
	v_add_f32_e32 v7, v14, v7
	v_mul_f32_e32 v7, v11, v7
	v_add_f32_e32 v11, v13, v7
	v_sub_f32_e32 v8, v11, v13
	v_mul_f32_e32 v12, v11, v11
	v_sub_f32_e32 v13, v7, v8
	v_fma_f32 v7, v11, v11, -v12
	v_add_f32_e32 v8, v13, v13
	v_fmac_f32_e32 v7, v11, v8
	v_add_f32_e32 v14, v12, v7
	v_fmaak_f32 v8, s11, v14, 0x3e91f4c4
	v_sub_f32_e32 v12, v14, v12
	v_mul_f32_e32 v19, v11, v14
	v_fmaak_f32 v8, v14, v8, 0x3ecccdef
	v_sub_f32_e32 v12, v7, v12
	v_fma_f32 v20, v14, v11, -v19
	v_mul_f32_e32 v15, v14, v8
	v_fmac_f32_e32 v20, v14, v13
	v_ldexp_f32 v13, v13, 1
	v_fma_f32 v16, v14, v8, -v15
	v_fmac_f32_e32 v20, v12, v11
	v_fmac_f32_e32 v16, v12, v8
	v_cvt_f64_f32_e64 v[7:8], |v10|
	v_add_f32_e32 v17, v15, v16
	v_sub_f32_e32 v15, v17, v15
	v_add_f32_e32 v18, 0x3f2aaaaa, v17
	v_sub_f32_e32 v15, v16, v15
	v_add_f32_e32 v16, 0xbf2aaaaa, v18
	v_add_f32_e32 v15, 0x31739010, v15
	v_sub_f32_e32 v16, v17, v16
	v_frexp_exp_i32_f64_e32 v7, v[7:8]
	v_add_f32_e32 v14, v15, v16
	v_add_f32_e32 v15, v19, v20
	;; [unrolled: 1-line block ×3, first 2 shown]
	v_sub_f32_e32 v17, v15, v19
	v_sub_f32_e32 v8, v18, v12
	v_mul_f32_e32 v16, v15, v12
	v_sub_f32_e32 v17, v20, v17
	v_add_f32_e32 v8, v14, v8
	v_fma_f32 v14, v15, v12, -v16
	v_subrev_co_ci_u32_e64 v7, null, 0, v7, vcc_lo
	v_fmac_f32_e32 v14, v15, v8
	v_ldexp_f32 v8, v11, 1
	v_cvt_f32_i32_e32 v7, v7
	v_fmac_f32_e32 v14, v17, v12
	v_add_f32_e32 v11, v16, v14
	v_add_f32_e32 v12, v8, v11
	v_sub_f32_e32 v15, v11, v16
	v_mul_f32_e32 v16, 0x3f317218, v7
	v_sub_f32_e32 v8, v12, v8
	v_sub_f32_e32 v14, v14, v15
	v_fma_f32 v15, 0x3f317218, v7, -v16
	v_sub_f32_e32 v8, v11, v8
	v_add_f32_e32 v11, v13, v14
	v_fmac_f32_e32 v15, 0xb102e308, v7
	v_add_f32_e32 v7, v11, v8
	v_add_f32_e32 v8, v16, v15
	;; [unrolled: 1-line block ×3, first 2 shown]
	v_sub_f32_e32 v16, v8, v16
	v_add_f32_e32 v13, v8, v11
	v_sub_f32_e32 v12, v11, v12
	v_sub_f32_e32 v15, v15, v16
	;; [unrolled: 1-line block ×6, first 2 shown]
	v_add_f32_e32 v12, v15, v7
	v_sub_f32_e32 v8, v8, v17
	v_add_f32_e32 v8, v11, v8
	v_sub_f32_e32 v11, v12, v15
	;; [unrolled: 2-line block ×3, first 2 shown]
	v_sub_f32_e32 v7, v7, v11
	v_add_f32_e32 v14, v13, v8
	v_sub_f32_e32 v11, v15, v12
	v_sub_f32_e32 v12, v14, v13
	v_add_f32_e32 v7, v7, v11
	v_sub_f32_e32 v8, v8, v12
	v_add_f32_e32 v7, v7, v8
	v_add_f32_e32 v8, v14, v7
	v_sub_f32_e32 v11, v8, v14
	v_mul_f32_e32 v12, v9, v8
	v_sub_f32_e32 v7, v7, v11
	v_fma_f32 v8, v9, v8, -v12
	v_cmp_class_f32_e64 vcc_lo, v12, 0x204
	v_fmac_f32_e32 v8, v9, v7
	v_add_f32_e32 v7, v12, v8
	v_cndmask_b32_e32 v11, v7, v12, vcc_lo
	v_sub_f32_e32 v7, v7, v12
	v_cmp_eq_f32_e32 vcc_lo, 0x42b17218, v11
	v_sub_f32_e32 v7, v8, v7
	v_cndmask_b32_e64 v13, 0, 0x37000000, vcc_lo
	v_cmp_neq_f32_e64 vcc_lo, 0x7f800000, |v11|
	v_sub_f32_e32 v14, v11, v13
	v_cndmask_b32_e32 v7, 0, v7, vcc_lo
	v_trunc_f32_e32 v11, v9
	v_mul_f32_e32 v15, 0x3fb8aa3b, v14
	v_cmp_ngt_f32_e32 vcc_lo, 0xc2ce8ed0, v14
	v_add_f32_e32 v7, v13, v7
	v_fma_f32 v16, 0x3fb8aa3b, v14, -v15
	v_rndne_f32_e32 v17, v15
	v_fmac_f32_e32 v16, 0x32a5705f, v14
	v_sub_f32_e32 v15, v15, v17
	v_cvt_i32_f32_e32 v12, v17
	v_add_f32_e32 v15, v15, v16
	v_exp_f32_e32 v15, v15
	v_ldexp_f32 v8, v15, v12
	v_mul_f32_e32 v12, 0.5, v9
	v_cndmask_b32_e32 v8, 0, v8, vcc_lo
	v_cmp_nlt_f32_e32 vcc_lo, 0x42b17218, v14
	v_trunc_f32_e32 v15, v12
	v_cndmask_b32_e32 v8, 0x7f800000, v8, vcc_lo
	v_cmp_eq_f32_e32 vcc_lo, v11, v9
	v_cmp_neq_f32_e64 s0, v15, v12
	v_fma_f32 v7, v8, v7, v8
	v_cmp_class_f32_e64 s1, v8, 0x204
	s_and_b32 s0, vcc_lo, s0
	v_cndmask_b32_e64 v11, 1.0, v10, s0
	v_cndmask_b32_e64 v13, 0, v10, s0
	v_cndmask_b32_e64 v7, v7, v8, s1
	;; [unrolled: 1-line block ×3, first 2 shown]
	v_cmp_gt_f32_e64 s1, 0, v9
	v_cmp_class_f32_e64 s0, v10, 0x204
	v_bfi_b32 v7, 0x7fffffff, v7, v11
	s_xor_b32 s1, s1, s2
	v_cndmask_b32_e64 v11, 0x7f800000, 0, s1
	v_cndmask_b32_e32 v12, 0x7fc00000, v7, vcc_lo
	v_cmp_neq_f32_e64 vcc_lo, |v10|, 1.0
	v_bfi_b32 v11, 0x7fffffff, v11, v13
	v_cndmask_b32_e32 v8, 1.0, v8, vcc_lo
	v_cmp_gt_f32_e32 vcc_lo, 0, v10
	v_cndmask_b32_e32 v7, v7, v12, vcc_lo
	v_cmp_class_f32_e64 vcc_lo, v9, 0x204
	v_cndmask_b32_e32 v7, v7, v8, vcc_lo
	s_or_b32 vcc_lo, s2, s0
	v_cndmask_b32_e32 v7, v7, v11, vcc_lo
	v_cmp_o_f32_e32 vcc_lo, v10, v9
	v_cndmask_b32_e32 v7, 0x7fc00000, v7, vcc_lo
	v_add_co_u32 v0, vcc_lo, v0, s4
	v_add_co_ci_u32_e64 v1, null, s5, v1, vcc_lo
	v_cvt_f16_f32_e32 v7, v7
	v_sub_co_u32 v2, vcc_lo, v2, s4
	v_subrev_co_ci_u32_e64 v3, null, s5, v3, vcc_lo
	v_cmp_le_i32_e32 vcc_lo, s3, v0
	global_store_short v[4:5], v7, off
	v_add_co_u32 v4, s0, v4, s6
	v_add_co_ci_u32_e64 v5, null, s7, v5, s0
	s_or_b32 s17, vcc_lo, s17
	s_andn2_b32 exec_lo, exec_lo, s17
	s_cbranch_execz .LBB42_7
.LBB42_3:                               ; =>This Inner Loop Header: Depth=1
	s_mov_b32 s0, exec_lo
                                        ; implicit-def: $vgpr7
	v_cmpx_le_i64_e64 s[12:13], v[0:1]
	s_xor_b32 s0, exec_lo, s0
	s_cbranch_execz .LBB42_5
; %bb.4:                                ;   in Loop: Header=BB42_3 Depth=1
	v_xor_b32_e32 v7, v2, v3
	v_ffbh_i32_e32 v8, v3
	v_ashrrev_i32_e32 v7, 31, v7
	v_add_nc_u32_e32 v8, -1, v8
	v_add_nc_u32_e32 v7, 32, v7
	v_min_u32_e32 v9, v8, v7
	v_lshlrev_b64 v[7:8], v9, v[2:3]
	v_min_u32_e32 v7, 1, v7
	v_or_b32_e32 v7, v8, v7
	v_sub_nc_u32_e32 v8, 32, v9
	v_cvt_f32_i32_e32 v7, v7
	v_ldexp_f32 v7, v7, v8
	v_cvt_f16_f32_e32 v7, v7
	v_fma_f16 v7, -s16, v7, s10
.LBB42_5:                               ;   in Loop: Header=BB42_3 Depth=1
	s_andn2_saveexec_b32 s0, s0
	s_cbranch_execz .LBB42_2
; %bb.6:                                ;   in Loop: Header=BB42_3 Depth=1
	v_cvt_f32_i32_e32 v7, v0
	v_cvt_f16_f32_e32 v7, v7
	v_fma_f16 v7, s16, v7, s8
	s_branch .LBB42_2
.LBB42_7:
	s_endpgm
	.section	.rodata,"a",@progbits
	.p2align	6, 0x0
	.amdhsa_kernel _ZN12_GLOBAL__N_141elementwise_kernel_with_index_grid_strideIiZZZN2at6native17logspace_cuda_outERKN3c106ScalarES6_ldRNS1_6TensorEENKUlvE0_clEvENKUlvE3_clEvEUllE_EEvT_T0_PN15function_traitsISD_E11result_typeE
		.amdhsa_group_segment_fixed_size 0
		.amdhsa_private_segment_fixed_size 0
		.amdhsa_kernarg_size 304
		.amdhsa_user_sgpr_count 6
		.amdhsa_user_sgpr_private_segment_buffer 1
		.amdhsa_user_sgpr_dispatch_ptr 0
		.amdhsa_user_sgpr_queue_ptr 0
		.amdhsa_user_sgpr_kernarg_segment_ptr 1
		.amdhsa_user_sgpr_dispatch_id 0
		.amdhsa_user_sgpr_flat_scratch_init 0
		.amdhsa_user_sgpr_private_segment_size 0
		.amdhsa_wavefront_size32 1
		.amdhsa_uses_dynamic_stack 0
		.amdhsa_system_sgpr_private_segment_wavefront_offset 0
		.amdhsa_system_sgpr_workgroup_id_x 1
		.amdhsa_system_sgpr_workgroup_id_y 0
		.amdhsa_system_sgpr_workgroup_id_z 0
		.amdhsa_system_sgpr_workgroup_info 0
		.amdhsa_system_vgpr_workitem_id 0
		.amdhsa_next_free_vgpr 21
		.amdhsa_next_free_sgpr 18
		.amdhsa_reserve_vcc 1
		.amdhsa_reserve_flat_scratch 0
		.amdhsa_float_round_mode_32 0
		.amdhsa_float_round_mode_16_64 0
		.amdhsa_float_denorm_mode_32 3
		.amdhsa_float_denorm_mode_16_64 3
		.amdhsa_dx10_clamp 1
		.amdhsa_ieee_mode 1
		.amdhsa_fp16_overflow 0
		.amdhsa_workgroup_processor_mode 1
		.amdhsa_memory_ordered 1
		.amdhsa_forward_progress 1
		.amdhsa_shared_vgpr_count 0
		.amdhsa_exception_fp_ieee_invalid_op 0
		.amdhsa_exception_fp_denorm_src 0
		.amdhsa_exception_fp_ieee_div_zero 0
		.amdhsa_exception_fp_ieee_overflow 0
		.amdhsa_exception_fp_ieee_underflow 0
		.amdhsa_exception_fp_ieee_inexact 0
		.amdhsa_exception_int_div_zero 0
	.end_amdhsa_kernel
	.section	.text._ZN12_GLOBAL__N_141elementwise_kernel_with_index_grid_strideIiZZZN2at6native17logspace_cuda_outERKN3c106ScalarES6_ldRNS1_6TensorEENKUlvE0_clEvENKUlvE3_clEvEUllE_EEvT_T0_PN15function_traitsISD_E11result_typeE,"axG",@progbits,_ZN12_GLOBAL__N_141elementwise_kernel_with_index_grid_strideIiZZZN2at6native17logspace_cuda_outERKN3c106ScalarES6_ldRNS1_6TensorEENKUlvE0_clEvENKUlvE3_clEvEUllE_EEvT_T0_PN15function_traitsISD_E11result_typeE,comdat
.Lfunc_end42:
	.size	_ZN12_GLOBAL__N_141elementwise_kernel_with_index_grid_strideIiZZZN2at6native17logspace_cuda_outERKN3c106ScalarES6_ldRNS1_6TensorEENKUlvE0_clEvENKUlvE3_clEvEUllE_EEvT_T0_PN15function_traitsISD_E11result_typeE, .Lfunc_end42-_ZN12_GLOBAL__N_141elementwise_kernel_with_index_grid_strideIiZZZN2at6native17logspace_cuda_outERKN3c106ScalarES6_ldRNS1_6TensorEENKUlvE0_clEvENKUlvE3_clEvEUllE_EEvT_T0_PN15function_traitsISD_E11result_typeE
                                        ; -- End function
	.set _ZN12_GLOBAL__N_141elementwise_kernel_with_index_grid_strideIiZZZN2at6native17logspace_cuda_outERKN3c106ScalarES6_ldRNS1_6TensorEENKUlvE0_clEvENKUlvE3_clEvEUllE_EEvT_T0_PN15function_traitsISD_E11result_typeE.num_vgpr, 21
	.set _ZN12_GLOBAL__N_141elementwise_kernel_with_index_grid_strideIiZZZN2at6native17logspace_cuda_outERKN3c106ScalarES6_ldRNS1_6TensorEENKUlvE0_clEvENKUlvE3_clEvEUllE_EEvT_T0_PN15function_traitsISD_E11result_typeE.num_agpr, 0
	.set _ZN12_GLOBAL__N_141elementwise_kernel_with_index_grid_strideIiZZZN2at6native17logspace_cuda_outERKN3c106ScalarES6_ldRNS1_6TensorEENKUlvE0_clEvENKUlvE3_clEvEUllE_EEvT_T0_PN15function_traitsISD_E11result_typeE.numbered_sgpr, 18
	.set _ZN12_GLOBAL__N_141elementwise_kernel_with_index_grid_strideIiZZZN2at6native17logspace_cuda_outERKN3c106ScalarES6_ldRNS1_6TensorEENKUlvE0_clEvENKUlvE3_clEvEUllE_EEvT_T0_PN15function_traitsISD_E11result_typeE.num_named_barrier, 0
	.set _ZN12_GLOBAL__N_141elementwise_kernel_with_index_grid_strideIiZZZN2at6native17logspace_cuda_outERKN3c106ScalarES6_ldRNS1_6TensorEENKUlvE0_clEvENKUlvE3_clEvEUllE_EEvT_T0_PN15function_traitsISD_E11result_typeE.private_seg_size, 0
	.set _ZN12_GLOBAL__N_141elementwise_kernel_with_index_grid_strideIiZZZN2at6native17logspace_cuda_outERKN3c106ScalarES6_ldRNS1_6TensorEENKUlvE0_clEvENKUlvE3_clEvEUllE_EEvT_T0_PN15function_traitsISD_E11result_typeE.uses_vcc, 1
	.set _ZN12_GLOBAL__N_141elementwise_kernel_with_index_grid_strideIiZZZN2at6native17logspace_cuda_outERKN3c106ScalarES6_ldRNS1_6TensorEENKUlvE0_clEvENKUlvE3_clEvEUllE_EEvT_T0_PN15function_traitsISD_E11result_typeE.uses_flat_scratch, 0
	.set _ZN12_GLOBAL__N_141elementwise_kernel_with_index_grid_strideIiZZZN2at6native17logspace_cuda_outERKN3c106ScalarES6_ldRNS1_6TensorEENKUlvE0_clEvENKUlvE3_clEvEUllE_EEvT_T0_PN15function_traitsISD_E11result_typeE.has_dyn_sized_stack, 0
	.set _ZN12_GLOBAL__N_141elementwise_kernel_with_index_grid_strideIiZZZN2at6native17logspace_cuda_outERKN3c106ScalarES6_ldRNS1_6TensorEENKUlvE0_clEvENKUlvE3_clEvEUllE_EEvT_T0_PN15function_traitsISD_E11result_typeE.has_recursion, 0
	.set _ZN12_GLOBAL__N_141elementwise_kernel_with_index_grid_strideIiZZZN2at6native17logspace_cuda_outERKN3c106ScalarES6_ldRNS1_6TensorEENKUlvE0_clEvENKUlvE3_clEvEUllE_EEvT_T0_PN15function_traitsISD_E11result_typeE.has_indirect_call, 0
	.section	.AMDGPU.csdata,"",@progbits
; Kernel info:
; codeLenInByte = 1320
; TotalNumSgprs: 20
; NumVgprs: 21
; ScratchSize: 0
; MemoryBound: 0
; FloatMode: 240
; IeeeMode: 1
; LDSByteSize: 0 bytes/workgroup (compile time only)
; SGPRBlocks: 0
; VGPRBlocks: 2
; NumSGPRsForWavesPerEU: 20
; NumVGPRsForWavesPerEU: 21
; Occupancy: 16
; WaveLimiterHint : 0
; COMPUTE_PGM_RSRC2:SCRATCH_EN: 0
; COMPUTE_PGM_RSRC2:USER_SGPR: 6
; COMPUTE_PGM_RSRC2:TRAP_HANDLER: 0
; COMPUTE_PGM_RSRC2:TGID_X_EN: 1
; COMPUTE_PGM_RSRC2:TGID_Y_EN: 0
; COMPUTE_PGM_RSRC2:TGID_Z_EN: 0
; COMPUTE_PGM_RSRC2:TIDIG_COMP_CNT: 0
	.section	.text._ZN12_GLOBAL__N_141elementwise_kernel_with_index_grid_strideIlZZZN2at6native17logspace_cuda_outERKN3c106ScalarES6_ldRNS1_6TensorEENKUlvE0_clEvENKUlvE3_clEvEUllE_EEvT_T0_PN15function_traitsISD_E11result_typeE,"axG",@progbits,_ZN12_GLOBAL__N_141elementwise_kernel_with_index_grid_strideIlZZZN2at6native17logspace_cuda_outERKN3c106ScalarES6_ldRNS1_6TensorEENKUlvE0_clEvENKUlvE3_clEvEUllE_EEvT_T0_PN15function_traitsISD_E11result_typeE,comdat
	.globl	_ZN12_GLOBAL__N_141elementwise_kernel_with_index_grid_strideIlZZZN2at6native17logspace_cuda_outERKN3c106ScalarES6_ldRNS1_6TensorEENKUlvE0_clEvENKUlvE3_clEvEUllE_EEvT_T0_PN15function_traitsISD_E11result_typeE ; -- Begin function _ZN12_GLOBAL__N_141elementwise_kernel_with_index_grid_strideIlZZZN2at6native17logspace_cuda_outERKN3c106ScalarES6_ldRNS1_6TensorEENKUlvE0_clEvENKUlvE3_clEvEUllE_EEvT_T0_PN15function_traitsISD_E11result_typeE
	.p2align	8
	.type	_ZN12_GLOBAL__N_141elementwise_kernel_with_index_grid_strideIlZZZN2at6native17logspace_cuda_outERKN3c106ScalarES6_ldRNS1_6TensorEENKUlvE0_clEvENKUlvE3_clEvEUllE_EEvT_T0_PN15function_traitsISD_E11result_typeE,@function
_ZN12_GLOBAL__N_141elementwise_kernel_with_index_grid_strideIlZZZN2at6native17logspace_cuda_outERKN3c106ScalarES6_ldRNS1_6TensorEENKUlvE0_clEvENKUlvE3_clEvEUllE_EEvT_T0_PN15function_traitsISD_E11result_typeE: ; @_ZN12_GLOBAL__N_141elementwise_kernel_with_index_grid_strideIlZZZN2at6native17logspace_cuda_outERKN3c106ScalarES6_ldRNS1_6TensorEENKUlvE0_clEvENKUlvE3_clEvEUllE_EEvT_T0_PN15function_traitsISD_E11result_typeE
; %bb.0:
	s_clause 0x1
	s_load_dword s2, s[4:5], 0x3c
	s_load_dwordx2 s[16:17], s[4:5], 0x0
	v_mov_b32_e32 v1, 0
	s_add_u32 s0, s4, 48
	s_addc_u32 s1, s5, 0
	s_mov_b32 s3, exec_lo
	s_waitcnt lgkmcnt(0)
	s_and_b32 s2, s2, 0xffff
	v_mad_u64_u32 v[0:1], null, s2, s6, v[0:1]
	v_cmpx_gt_i64_e64 s[16:17], v[0:1]
	s_cbranch_execz .LBB43_7
; %bb.1:
	s_load_dword s0, s[0:1], 0x0
	s_clause 0x2
	s_load_dwordx4 s[8:11], s[4:5], 0x8
	s_load_dwordx4 s[12:15], s[4:5], 0x20
	s_load_dword s18, s[4:5], 0x18
	v_not_b32_e32 v2, v0
	v_lshlrev_b64 v[4:5], 1, v[0:1]
	v_not_b32_e32 v3, v1
	s_mov_b32 s3, 0
	s_waitcnt lgkmcnt(0)
	s_mul_hi_u32 s5, s2, s0
	v_add_co_u32 v2, vcc_lo, v2, s10
	v_add_co_ci_u32_e64 v3, null, s11, v3, vcc_lo
	v_add_co_u32 v4, vcc_lo, s14, v4
	v_cvt_f32_f16_e32 v6, s9
	v_cmp_eq_f16_e64 s9, s9, 1.0
	v_add_co_ci_u32_e64 v5, null, s15, v5, vcc_lo
	s_mul_i32 s4, s2, s0
	s_lshr_b32 s10, s8, 16
	s_lshl_b64 s[6:7], s[4:5], 1
	s_mov_b32 s11, 0x3e76c4e1
	s_branch .LBB43_3
.LBB43_2:                               ;   in Loop: Header=BB43_3 Depth=1
	s_or_b32 exec_lo, exec_lo, s0
	v_cvt_f32_f16_e32 v7, v7
	v_cndmask_b32_e64 v9, v7, 1.0, s9
	v_cmp_neq_f32_e32 vcc_lo, 0, v9
	v_cmp_neq_f32_e64 s14, v9, |v9|
	v_cndmask_b32_e32 v10, 1.0, v6, vcc_lo
	v_frexp_mant_f32_e64 v7, |v10|
	v_cmp_lt_f32_e64 s15, |v10|, 1.0
	v_cmp_eq_f32_e64 s2, 0, v10
	v_cmp_gt_f32_e32 vcc_lo, 0x3f2aaaab, v7
	s_xor_b32 s14, s14, s15
	v_cndmask_b32_e64 v8, 1.0, 2.0, vcc_lo
	v_mul_f32_e32 v7, v7, v8
	v_add_f32_e32 v8, 1.0, v7
	v_add_f32_e32 v12, -1.0, v7
	v_rcp_f32_e32 v11, v8
	v_add_f32_e32 v14, -1.0, v8
	v_sub_f32_e32 v7, v7, v14
	v_mul_f32_e32 v13, v12, v11
	v_mul_f32_e32 v15, v8, v13
	v_fma_f32 v8, v13, v8, -v15
	v_fmac_f32_e32 v8, v13, v7
	v_add_f32_e32 v7, v15, v8
	v_sub_f32_e32 v14, v12, v7
	v_sub_f32_e32 v15, v7, v15
	;; [unrolled: 1-line block ×5, first 2 shown]
	v_add_f32_e32 v7, v8, v7
	v_add_f32_e32 v7, v14, v7
	v_mul_f32_e32 v7, v11, v7
	v_add_f32_e32 v11, v13, v7
	v_sub_f32_e32 v8, v11, v13
	v_mul_f32_e32 v12, v11, v11
	v_sub_f32_e32 v13, v7, v8
	v_fma_f32 v7, v11, v11, -v12
	v_add_f32_e32 v8, v13, v13
	v_fmac_f32_e32 v7, v11, v8
	v_add_f32_e32 v14, v12, v7
	v_fmaak_f32 v8, s11, v14, 0x3e91f4c4
	v_sub_f32_e32 v12, v14, v12
	v_mul_f32_e32 v19, v11, v14
	v_fmaak_f32 v8, v14, v8, 0x3ecccdef
	v_sub_f32_e32 v12, v7, v12
	v_fma_f32 v20, v14, v11, -v19
	v_mul_f32_e32 v15, v14, v8
	v_fmac_f32_e32 v20, v14, v13
	v_ldexp_f32 v13, v13, 1
	v_fma_f32 v16, v14, v8, -v15
	v_fmac_f32_e32 v20, v12, v11
	v_fmac_f32_e32 v16, v12, v8
	v_cvt_f64_f32_e64 v[7:8], |v10|
	v_add_f32_e32 v17, v15, v16
	v_sub_f32_e32 v15, v17, v15
	v_add_f32_e32 v18, 0x3f2aaaaa, v17
	v_sub_f32_e32 v15, v16, v15
	v_add_f32_e32 v16, 0xbf2aaaaa, v18
	v_add_f32_e32 v15, 0x31739010, v15
	v_sub_f32_e32 v16, v17, v16
	v_frexp_exp_i32_f64_e32 v7, v[7:8]
	v_add_f32_e32 v14, v15, v16
	v_add_f32_e32 v15, v19, v20
	;; [unrolled: 1-line block ×3, first 2 shown]
	v_sub_f32_e32 v17, v15, v19
	v_sub_f32_e32 v8, v18, v12
	v_mul_f32_e32 v16, v15, v12
	v_sub_f32_e32 v17, v20, v17
	v_add_f32_e32 v8, v14, v8
	v_fma_f32 v14, v15, v12, -v16
	v_subrev_co_ci_u32_e64 v7, null, 0, v7, vcc_lo
	v_fmac_f32_e32 v14, v15, v8
	v_ldexp_f32 v8, v11, 1
	v_cvt_f32_i32_e32 v7, v7
	v_fmac_f32_e32 v14, v17, v12
	v_add_f32_e32 v11, v16, v14
	v_add_f32_e32 v12, v8, v11
	v_sub_f32_e32 v15, v11, v16
	v_mul_f32_e32 v16, 0x3f317218, v7
	v_sub_f32_e32 v8, v12, v8
	v_sub_f32_e32 v14, v14, v15
	v_fma_f32 v15, 0x3f317218, v7, -v16
	v_sub_f32_e32 v8, v11, v8
	v_add_f32_e32 v11, v13, v14
	v_fmac_f32_e32 v15, 0xb102e308, v7
	v_add_f32_e32 v7, v11, v8
	v_add_f32_e32 v8, v16, v15
	v_add_f32_e32 v11, v12, v7
	v_sub_f32_e32 v16, v8, v16
	v_add_f32_e32 v13, v8, v11
	v_sub_f32_e32 v12, v11, v12
	v_sub_f32_e32 v15, v15, v16
	;; [unrolled: 1-line block ×6, first 2 shown]
	v_add_f32_e32 v12, v15, v7
	v_sub_f32_e32 v8, v8, v17
	v_add_f32_e32 v8, v11, v8
	v_sub_f32_e32 v11, v12, v15
	;; [unrolled: 2-line block ×3, first 2 shown]
	v_sub_f32_e32 v7, v7, v11
	v_add_f32_e32 v14, v13, v8
	v_sub_f32_e32 v11, v15, v12
	v_sub_f32_e32 v12, v14, v13
	v_add_f32_e32 v7, v7, v11
	v_sub_f32_e32 v8, v8, v12
	v_add_f32_e32 v7, v7, v8
	v_add_f32_e32 v8, v14, v7
	v_sub_f32_e32 v11, v8, v14
	v_mul_f32_e32 v12, v9, v8
	v_sub_f32_e32 v7, v7, v11
	v_fma_f32 v8, v9, v8, -v12
	v_cmp_class_f32_e64 vcc_lo, v12, 0x204
	v_fmac_f32_e32 v8, v9, v7
	v_add_f32_e32 v7, v12, v8
	v_cndmask_b32_e32 v11, v7, v12, vcc_lo
	v_sub_f32_e32 v7, v7, v12
	v_cmp_eq_f32_e32 vcc_lo, 0x42b17218, v11
	v_sub_f32_e32 v7, v8, v7
	v_cndmask_b32_e64 v13, 0, 0x37000000, vcc_lo
	v_cmp_neq_f32_e64 vcc_lo, 0x7f800000, |v11|
	v_sub_f32_e32 v14, v11, v13
	v_cndmask_b32_e32 v7, 0, v7, vcc_lo
	v_trunc_f32_e32 v11, v9
	v_mul_f32_e32 v15, 0x3fb8aa3b, v14
	v_cmp_ngt_f32_e32 vcc_lo, 0xc2ce8ed0, v14
	v_add_f32_e32 v7, v13, v7
	v_fma_f32 v16, 0x3fb8aa3b, v14, -v15
	v_rndne_f32_e32 v17, v15
	v_fmac_f32_e32 v16, 0x32a5705f, v14
	v_sub_f32_e32 v15, v15, v17
	v_cvt_i32_f32_e32 v12, v17
	v_add_f32_e32 v15, v15, v16
	v_exp_f32_e32 v15, v15
	v_ldexp_f32 v8, v15, v12
	v_mul_f32_e32 v12, 0.5, v9
	v_cndmask_b32_e32 v8, 0, v8, vcc_lo
	v_cmp_nlt_f32_e32 vcc_lo, 0x42b17218, v14
	v_trunc_f32_e32 v15, v12
	v_cndmask_b32_e32 v8, 0x7f800000, v8, vcc_lo
	v_cmp_eq_f32_e32 vcc_lo, v11, v9
	v_cmp_neq_f32_e64 s0, v15, v12
	v_fma_f32 v7, v8, v7, v8
	v_cmp_class_f32_e64 s1, v8, 0x204
	s_and_b32 s0, vcc_lo, s0
	v_cndmask_b32_e64 v11, 1.0, v10, s0
	v_cndmask_b32_e64 v13, 0, v10, s0
	v_cndmask_b32_e64 v7, v7, v8, s1
	;; [unrolled: 1-line block ×3, first 2 shown]
	v_cmp_gt_f32_e64 s1, 0, v9
	v_cmp_class_f32_e64 s0, v10, 0x204
	v_bfi_b32 v7, 0x7fffffff, v7, v11
	s_xor_b32 s1, s1, s2
	v_cndmask_b32_e64 v11, 0x7f800000, 0, s1
	v_cndmask_b32_e32 v12, 0x7fc00000, v7, vcc_lo
	v_cmp_neq_f32_e64 vcc_lo, |v10|, 1.0
	v_bfi_b32 v11, 0x7fffffff, v11, v13
	v_cndmask_b32_e32 v8, 1.0, v8, vcc_lo
	v_cmp_gt_f32_e32 vcc_lo, 0, v10
	v_cndmask_b32_e32 v7, v7, v12, vcc_lo
	v_cmp_class_f32_e64 vcc_lo, v9, 0x204
	v_cndmask_b32_e32 v7, v7, v8, vcc_lo
	s_or_b32 vcc_lo, s2, s0
	v_cndmask_b32_e32 v7, v7, v11, vcc_lo
	v_cmp_o_f32_e32 vcc_lo, v10, v9
	v_cndmask_b32_e32 v7, 0x7fc00000, v7, vcc_lo
	v_add_co_u32 v0, vcc_lo, v0, s4
	v_add_co_ci_u32_e64 v1, null, s5, v1, vcc_lo
	v_cvt_f16_f32_e32 v7, v7
	v_sub_co_u32 v2, vcc_lo, v2, s4
	v_subrev_co_ci_u32_e64 v3, null, s5, v3, vcc_lo
	v_cmp_le_i64_e32 vcc_lo, s[16:17], v[0:1]
	global_store_short v[4:5], v7, off
	v_add_co_u32 v4, s0, v4, s6
	v_add_co_ci_u32_e64 v5, null, s7, v5, s0
	s_or_b32 s3, vcc_lo, s3
	s_andn2_b32 exec_lo, exec_lo, s3
	s_cbranch_execz .LBB43_7
.LBB43_3:                               ; =>This Inner Loop Header: Depth=1
	s_mov_b32 s0, exec_lo
                                        ; implicit-def: $vgpr7
	v_cmpx_le_i64_e64 s[12:13], v[0:1]
	s_xor_b32 s0, exec_lo, s0
	s_cbranch_execz .LBB43_5
; %bb.4:                                ;   in Loop: Header=BB43_3 Depth=1
	v_xor_b32_e32 v7, v2, v3
	v_ffbh_i32_e32 v8, v3
	v_ashrrev_i32_e32 v7, 31, v7
	v_add_nc_u32_e32 v8, -1, v8
	v_add_nc_u32_e32 v7, 32, v7
	v_min_u32_e32 v9, v8, v7
	v_lshlrev_b64 v[7:8], v9, v[2:3]
	v_min_u32_e32 v7, 1, v7
	v_or_b32_e32 v7, v8, v7
	v_sub_nc_u32_e32 v8, 32, v9
	v_cvt_f32_i32_e32 v7, v7
	v_ldexp_f32 v7, v7, v8
	v_cvt_f16_f32_e32 v7, v7
	v_fma_f16 v7, -s18, v7, s10
.LBB43_5:                               ;   in Loop: Header=BB43_3 Depth=1
	s_andn2_saveexec_b32 s0, s0
	s_cbranch_execz .LBB43_2
; %bb.6:                                ;   in Loop: Header=BB43_3 Depth=1
	v_ffbh_u32_e32 v7, v1
	v_min_u32_e32 v9, 32, v7
	v_lshlrev_b64 v[7:8], v9, v[0:1]
	v_min_u32_e32 v7, 1, v7
	v_or_b32_e32 v7, v8, v7
	v_sub_nc_u32_e32 v8, 32, v9
	v_cvt_f32_u32_e32 v7, v7
	v_ldexp_f32 v7, v7, v8
	v_cvt_f16_f32_e32 v7, v7
	v_fma_f16 v7, s18, v7, s8
	s_branch .LBB43_2
.LBB43_7:
	s_endpgm
	.section	.rodata,"a",@progbits
	.p2align	6, 0x0
	.amdhsa_kernel _ZN12_GLOBAL__N_141elementwise_kernel_with_index_grid_strideIlZZZN2at6native17logspace_cuda_outERKN3c106ScalarES6_ldRNS1_6TensorEENKUlvE0_clEvENKUlvE3_clEvEUllE_EEvT_T0_PN15function_traitsISD_E11result_typeE
		.amdhsa_group_segment_fixed_size 0
		.amdhsa_private_segment_fixed_size 0
		.amdhsa_kernarg_size 304
		.amdhsa_user_sgpr_count 6
		.amdhsa_user_sgpr_private_segment_buffer 1
		.amdhsa_user_sgpr_dispatch_ptr 0
		.amdhsa_user_sgpr_queue_ptr 0
		.amdhsa_user_sgpr_kernarg_segment_ptr 1
		.amdhsa_user_sgpr_dispatch_id 0
		.amdhsa_user_sgpr_flat_scratch_init 0
		.amdhsa_user_sgpr_private_segment_size 0
		.amdhsa_wavefront_size32 1
		.amdhsa_uses_dynamic_stack 0
		.amdhsa_system_sgpr_private_segment_wavefront_offset 0
		.amdhsa_system_sgpr_workgroup_id_x 1
		.amdhsa_system_sgpr_workgroup_id_y 0
		.amdhsa_system_sgpr_workgroup_id_z 0
		.amdhsa_system_sgpr_workgroup_info 0
		.amdhsa_system_vgpr_workitem_id 0
		.amdhsa_next_free_vgpr 21
		.amdhsa_next_free_sgpr 19
		.amdhsa_reserve_vcc 1
		.amdhsa_reserve_flat_scratch 0
		.amdhsa_float_round_mode_32 0
		.amdhsa_float_round_mode_16_64 0
		.amdhsa_float_denorm_mode_32 3
		.amdhsa_float_denorm_mode_16_64 3
		.amdhsa_dx10_clamp 1
		.amdhsa_ieee_mode 1
		.amdhsa_fp16_overflow 0
		.amdhsa_workgroup_processor_mode 1
		.amdhsa_memory_ordered 1
		.amdhsa_forward_progress 1
		.amdhsa_shared_vgpr_count 0
		.amdhsa_exception_fp_ieee_invalid_op 0
		.amdhsa_exception_fp_denorm_src 0
		.amdhsa_exception_fp_ieee_div_zero 0
		.amdhsa_exception_fp_ieee_overflow 0
		.amdhsa_exception_fp_ieee_underflow 0
		.amdhsa_exception_fp_ieee_inexact 0
		.amdhsa_exception_int_div_zero 0
	.end_amdhsa_kernel
	.section	.text._ZN12_GLOBAL__N_141elementwise_kernel_with_index_grid_strideIlZZZN2at6native17logspace_cuda_outERKN3c106ScalarES6_ldRNS1_6TensorEENKUlvE0_clEvENKUlvE3_clEvEUllE_EEvT_T0_PN15function_traitsISD_E11result_typeE,"axG",@progbits,_ZN12_GLOBAL__N_141elementwise_kernel_with_index_grid_strideIlZZZN2at6native17logspace_cuda_outERKN3c106ScalarES6_ldRNS1_6TensorEENKUlvE0_clEvENKUlvE3_clEvEUllE_EEvT_T0_PN15function_traitsISD_E11result_typeE,comdat
.Lfunc_end43:
	.size	_ZN12_GLOBAL__N_141elementwise_kernel_with_index_grid_strideIlZZZN2at6native17logspace_cuda_outERKN3c106ScalarES6_ldRNS1_6TensorEENKUlvE0_clEvENKUlvE3_clEvEUllE_EEvT_T0_PN15function_traitsISD_E11result_typeE, .Lfunc_end43-_ZN12_GLOBAL__N_141elementwise_kernel_with_index_grid_strideIlZZZN2at6native17logspace_cuda_outERKN3c106ScalarES6_ldRNS1_6TensorEENKUlvE0_clEvENKUlvE3_clEvEUllE_EEvT_T0_PN15function_traitsISD_E11result_typeE
                                        ; -- End function
	.set _ZN12_GLOBAL__N_141elementwise_kernel_with_index_grid_strideIlZZZN2at6native17logspace_cuda_outERKN3c106ScalarES6_ldRNS1_6TensorEENKUlvE0_clEvENKUlvE3_clEvEUllE_EEvT_T0_PN15function_traitsISD_E11result_typeE.num_vgpr, 21
	.set _ZN12_GLOBAL__N_141elementwise_kernel_with_index_grid_strideIlZZZN2at6native17logspace_cuda_outERKN3c106ScalarES6_ldRNS1_6TensorEENKUlvE0_clEvENKUlvE3_clEvEUllE_EEvT_T0_PN15function_traitsISD_E11result_typeE.num_agpr, 0
	.set _ZN12_GLOBAL__N_141elementwise_kernel_with_index_grid_strideIlZZZN2at6native17logspace_cuda_outERKN3c106ScalarES6_ldRNS1_6TensorEENKUlvE0_clEvENKUlvE3_clEvEUllE_EEvT_T0_PN15function_traitsISD_E11result_typeE.numbered_sgpr, 19
	.set _ZN12_GLOBAL__N_141elementwise_kernel_with_index_grid_strideIlZZZN2at6native17logspace_cuda_outERKN3c106ScalarES6_ldRNS1_6TensorEENKUlvE0_clEvENKUlvE3_clEvEUllE_EEvT_T0_PN15function_traitsISD_E11result_typeE.num_named_barrier, 0
	.set _ZN12_GLOBAL__N_141elementwise_kernel_with_index_grid_strideIlZZZN2at6native17logspace_cuda_outERKN3c106ScalarES6_ldRNS1_6TensorEENKUlvE0_clEvENKUlvE3_clEvEUllE_EEvT_T0_PN15function_traitsISD_E11result_typeE.private_seg_size, 0
	.set _ZN12_GLOBAL__N_141elementwise_kernel_with_index_grid_strideIlZZZN2at6native17logspace_cuda_outERKN3c106ScalarES6_ldRNS1_6TensorEENKUlvE0_clEvENKUlvE3_clEvEUllE_EEvT_T0_PN15function_traitsISD_E11result_typeE.uses_vcc, 1
	.set _ZN12_GLOBAL__N_141elementwise_kernel_with_index_grid_strideIlZZZN2at6native17logspace_cuda_outERKN3c106ScalarES6_ldRNS1_6TensorEENKUlvE0_clEvENKUlvE3_clEvEUllE_EEvT_T0_PN15function_traitsISD_E11result_typeE.uses_flat_scratch, 0
	.set _ZN12_GLOBAL__N_141elementwise_kernel_with_index_grid_strideIlZZZN2at6native17logspace_cuda_outERKN3c106ScalarES6_ldRNS1_6TensorEENKUlvE0_clEvENKUlvE3_clEvEUllE_EEvT_T0_PN15function_traitsISD_E11result_typeE.has_dyn_sized_stack, 0
	.set _ZN12_GLOBAL__N_141elementwise_kernel_with_index_grid_strideIlZZZN2at6native17logspace_cuda_outERKN3c106ScalarES6_ldRNS1_6TensorEENKUlvE0_clEvENKUlvE3_clEvEUllE_EEvT_T0_PN15function_traitsISD_E11result_typeE.has_recursion, 0
	.set _ZN12_GLOBAL__N_141elementwise_kernel_with_index_grid_strideIlZZZN2at6native17logspace_cuda_outERKN3c106ScalarES6_ldRNS1_6TensorEENKUlvE0_clEvENKUlvE3_clEvEUllE_EEvT_T0_PN15function_traitsISD_E11result_typeE.has_indirect_call, 0
	.section	.AMDGPU.csdata,"",@progbits
; Kernel info:
; codeLenInByte = 1356
; TotalNumSgprs: 21
; NumVgprs: 21
; ScratchSize: 0
; MemoryBound: 0
; FloatMode: 240
; IeeeMode: 1
; LDSByteSize: 0 bytes/workgroup (compile time only)
; SGPRBlocks: 0
; VGPRBlocks: 2
; NumSGPRsForWavesPerEU: 21
; NumVGPRsForWavesPerEU: 21
; Occupancy: 16
; WaveLimiterHint : 0
; COMPUTE_PGM_RSRC2:SCRATCH_EN: 0
; COMPUTE_PGM_RSRC2:USER_SGPR: 6
; COMPUTE_PGM_RSRC2:TRAP_HANDLER: 0
; COMPUTE_PGM_RSRC2:TGID_X_EN: 1
; COMPUTE_PGM_RSRC2:TGID_Y_EN: 0
; COMPUTE_PGM_RSRC2:TGID_Z_EN: 0
; COMPUTE_PGM_RSRC2:TIDIG_COMP_CNT: 0
	.section	.text._ZN12_GLOBAL__N_141elementwise_kernel_with_index_grid_strideIiZZZN2at6native17logspace_cuda_outERKN3c106ScalarES6_ldRNS1_6TensorEENKUlvE0_clEvENKUlvE4_clEvEUllE_EEvT_T0_PN15function_traitsISD_E11result_typeE,"axG",@progbits,_ZN12_GLOBAL__N_141elementwise_kernel_with_index_grid_strideIiZZZN2at6native17logspace_cuda_outERKN3c106ScalarES6_ldRNS1_6TensorEENKUlvE0_clEvENKUlvE4_clEvEUllE_EEvT_T0_PN15function_traitsISD_E11result_typeE,comdat
	.globl	_ZN12_GLOBAL__N_141elementwise_kernel_with_index_grid_strideIiZZZN2at6native17logspace_cuda_outERKN3c106ScalarES6_ldRNS1_6TensorEENKUlvE0_clEvENKUlvE4_clEvEUllE_EEvT_T0_PN15function_traitsISD_E11result_typeE ; -- Begin function _ZN12_GLOBAL__N_141elementwise_kernel_with_index_grid_strideIiZZZN2at6native17logspace_cuda_outERKN3c106ScalarES6_ldRNS1_6TensorEENKUlvE0_clEvENKUlvE4_clEvEUllE_EEvT_T0_PN15function_traitsISD_E11result_typeE
	.p2align	8
	.type	_ZN12_GLOBAL__N_141elementwise_kernel_with_index_grid_strideIiZZZN2at6native17logspace_cuda_outERKN3c106ScalarES6_ldRNS1_6TensorEENKUlvE0_clEvENKUlvE4_clEvEUllE_EEvT_T0_PN15function_traitsISD_E11result_typeE,@function
_ZN12_GLOBAL__N_141elementwise_kernel_with_index_grid_strideIiZZZN2at6native17logspace_cuda_outERKN3c106ScalarES6_ldRNS1_6TensorEENKUlvE0_clEvENKUlvE4_clEvEUllE_EEvT_T0_PN15function_traitsISD_E11result_typeE: ; @_ZN12_GLOBAL__N_141elementwise_kernel_with_index_grid_strideIiZZZN2at6native17logspace_cuda_outERKN3c106ScalarES6_ldRNS1_6TensorEENKUlvE0_clEvENKUlvE4_clEvEUllE_EEvT_T0_PN15function_traitsISD_E11result_typeE
; %bb.0:
	s_clause 0x1
	s_load_dword s2, s[4:5], 0x3c
	s_load_dword s3, s[4:5], 0x0
	s_add_u32 s0, s4, 48
	s_addc_u32 s1, s5, 0
	s_waitcnt lgkmcnt(0)
	s_and_b32 s2, s2, 0xffff
	v_mad_u64_u32 v[0:1], null, s6, s2, v[0:1]
	s_mov_b32 s6, exec_lo
	v_cmpx_gt_i32_e64 s3, v0
	s_cbranch_execz .LBB44_7
; %bb.1:
	s_load_dword s0, s[0:1], 0x0
	s_clause 0x2
	s_load_dword s1, s[4:5], 0x18
	s_load_dwordx4 s[16:19], s[4:5], 0x8
	s_load_dwordx4 s[4:7], s[4:5], 0x20
	v_ashrrev_i32_e32 v1, 31, v0
	v_not_b32_e32 v2, v0
	s_mov_b32 s10, 0
	v_lshlrev_b64 v[4:5], 1, v[0:1]
	v_not_b32_e32 v3, v1
	s_waitcnt lgkmcnt(0)
	s_mul_i32 s8, s0, s2
	s_lshl_b32 s11, s1, 16
	v_add_co_u32 v2, vcc_lo, v2, s18
	s_lshl_b32 s13, s17, 16
	v_add_co_ci_u32_e64 v3, null, s19, v3, vcc_lo
	v_add_co_u32 v4, vcc_lo, s6, v4
	v_cmp_eq_f32_e64 s14, s13, 1.0
	v_add_co_ci_u32_e64 v5, null, s7, v5, vcc_lo
	s_ashr_i32 s9, s8, 31
	s_pack_lh_b32_b16 s12, 0, s16
	s_lshl_b32 s15, s16, 16
	s_lshl_b64 s[6:7], s[8:9], 1
	s_mov_b32 s16, 0x3e76c4e1
	s_branch .LBB44_3
.LBB44_2:                               ;   in Loop: Header=BB44_3 Depth=1
	s_or_b32 exec_lo, exec_lo, s0
	v_bfe_u32 v7, v6, 16, 1
	v_cmp_o_f32_e32 vcc_lo, v6, v6
	v_add3_u32 v7, v6, v7, 0x7fff
	v_and_b32_e32 v7, 0xffff0000, v7
	v_cndmask_b32_e32 v6, 0x7fc00000, v7, vcc_lo
	v_cndmask_b32_e64 v8, v6, 1.0, s14
	v_cmp_neq_f32_e32 vcc_lo, 0, v8
	v_cmp_neq_f32_e64 s17, v8, |v8|
	v_cndmask_b32_e64 v9, 1.0, s13, vcc_lo
	v_frexp_mant_f32_e64 v6, |v9|
	v_cmp_lt_f32_e64 s18, |v9|, 1.0
	v_cmp_eq_f32_e64 s2, 0, v9
	v_cmp_gt_f32_e32 vcc_lo, 0x3f2aaaab, v6
	s_xor_b32 s17, s17, s18
	v_cndmask_b32_e64 v7, 1.0, 2.0, vcc_lo
	v_mul_f32_e32 v6, v6, v7
	v_add_f32_e32 v7, 1.0, v6
	v_add_f32_e32 v11, -1.0, v6
	v_rcp_f32_e32 v10, v7
	v_add_f32_e32 v13, -1.0, v7
	v_sub_f32_e32 v6, v6, v13
	v_mul_f32_e32 v12, v11, v10
	v_mul_f32_e32 v14, v7, v12
	v_fma_f32 v7, v12, v7, -v14
	v_fmac_f32_e32 v7, v12, v6
	v_add_f32_e32 v6, v14, v7
	v_sub_f32_e32 v13, v11, v6
	v_sub_f32_e32 v14, v6, v14
	;; [unrolled: 1-line block ×5, first 2 shown]
	v_add_f32_e32 v6, v7, v6
	v_add_f32_e32 v6, v13, v6
	v_mul_f32_e32 v6, v10, v6
	v_add_f32_e32 v10, v12, v6
	v_sub_f32_e32 v7, v10, v12
	v_mul_f32_e32 v11, v10, v10
	v_sub_f32_e32 v12, v6, v7
	v_fma_f32 v6, v10, v10, -v11
	v_add_f32_e32 v7, v12, v12
	v_fmac_f32_e32 v6, v10, v7
	v_add_f32_e32 v13, v11, v6
	v_fmaak_f32 v7, s16, v13, 0x3e91f4c4
	v_sub_f32_e32 v11, v13, v11
	v_mul_f32_e32 v18, v10, v13
	v_fmaak_f32 v7, v13, v7, 0x3ecccdef
	v_sub_f32_e32 v11, v6, v11
	v_fma_f32 v19, v13, v10, -v18
	v_mul_f32_e32 v14, v13, v7
	v_fmac_f32_e32 v19, v13, v12
	v_ldexp_f32 v12, v12, 1
	v_fma_f32 v15, v13, v7, -v14
	v_fmac_f32_e32 v19, v11, v10
	v_fmac_f32_e32 v15, v11, v7
	v_cvt_f64_f32_e64 v[6:7], |v9|
	v_add_f32_e32 v16, v14, v15
	v_sub_f32_e32 v14, v16, v14
	v_add_f32_e32 v17, 0x3f2aaaaa, v16
	v_sub_f32_e32 v14, v15, v14
	v_add_f32_e32 v15, 0xbf2aaaaa, v17
	v_add_f32_e32 v14, 0x31739010, v14
	v_sub_f32_e32 v15, v16, v15
	v_frexp_exp_i32_f64_e32 v6, v[6:7]
	v_add_f32_e32 v13, v14, v15
	v_add_f32_e32 v14, v18, v19
	;; [unrolled: 1-line block ×3, first 2 shown]
	v_sub_f32_e32 v16, v14, v18
	v_sub_f32_e32 v7, v17, v11
	v_mul_f32_e32 v15, v14, v11
	v_sub_f32_e32 v16, v19, v16
	v_add_f32_e32 v7, v13, v7
	v_fma_f32 v13, v14, v11, -v15
	v_subrev_co_ci_u32_e64 v6, null, 0, v6, vcc_lo
	v_fmac_f32_e32 v13, v14, v7
	v_ldexp_f32 v7, v10, 1
	v_cvt_f32_i32_e32 v6, v6
	v_fmac_f32_e32 v13, v16, v11
	v_add_f32_e32 v10, v15, v13
	v_add_f32_e32 v11, v7, v10
	v_sub_f32_e32 v14, v10, v15
	v_mul_f32_e32 v15, 0x3f317218, v6
	v_sub_f32_e32 v7, v11, v7
	v_sub_f32_e32 v13, v13, v14
	v_fma_f32 v14, 0x3f317218, v6, -v15
	v_sub_f32_e32 v7, v10, v7
	v_add_f32_e32 v10, v12, v13
	v_fmac_f32_e32 v14, 0xb102e308, v6
	v_add_f32_e32 v6, v10, v7
	v_add_f32_e32 v7, v15, v14
	;; [unrolled: 1-line block ×3, first 2 shown]
	v_sub_f32_e32 v15, v7, v15
	v_add_f32_e32 v12, v7, v10
	v_sub_f32_e32 v11, v10, v11
	v_sub_f32_e32 v14, v14, v15
	;; [unrolled: 1-line block ×6, first 2 shown]
	v_add_f32_e32 v11, v14, v6
	v_sub_f32_e32 v7, v7, v16
	v_add_f32_e32 v7, v10, v7
	v_sub_f32_e32 v10, v11, v14
	;; [unrolled: 2-line block ×3, first 2 shown]
	v_sub_f32_e32 v6, v6, v10
	v_add_f32_e32 v13, v12, v7
	v_sub_f32_e32 v10, v14, v11
	v_sub_f32_e32 v11, v13, v12
	v_add_f32_e32 v6, v6, v10
	v_sub_f32_e32 v7, v7, v11
	v_add_f32_e32 v6, v6, v7
	v_add_f32_e32 v7, v13, v6
	v_sub_f32_e32 v10, v7, v13
	v_mul_f32_e32 v11, v8, v7
	v_sub_f32_e32 v6, v6, v10
	v_fma_f32 v7, v8, v7, -v11
	v_cmp_class_f32_e64 vcc_lo, v11, 0x204
	v_fmac_f32_e32 v7, v8, v6
	v_add_f32_e32 v6, v11, v7
	v_cndmask_b32_e32 v10, v6, v11, vcc_lo
	v_sub_f32_e32 v6, v6, v11
	v_cmp_eq_f32_e32 vcc_lo, 0x42b17218, v10
	v_sub_f32_e32 v6, v7, v6
	v_cndmask_b32_e64 v12, 0, 0x37000000, vcc_lo
	v_cmp_neq_f32_e64 vcc_lo, 0x7f800000, |v10|
	v_sub_f32_e32 v13, v10, v12
	v_cndmask_b32_e32 v6, 0, v6, vcc_lo
	v_trunc_f32_e32 v10, v8
	v_mul_f32_e32 v14, 0x3fb8aa3b, v13
	v_cmp_ngt_f32_e32 vcc_lo, 0xc2ce8ed0, v13
	v_add_f32_e32 v6, v12, v6
	v_fma_f32 v15, 0x3fb8aa3b, v13, -v14
	v_rndne_f32_e32 v16, v14
	v_fmac_f32_e32 v15, 0x32a5705f, v13
	v_sub_f32_e32 v14, v14, v16
	v_cvt_i32_f32_e32 v11, v16
	v_add_f32_e32 v14, v14, v15
	v_exp_f32_e32 v14, v14
	v_ldexp_f32 v7, v14, v11
	v_mul_f32_e32 v11, 0.5, v8
	v_cndmask_b32_e32 v7, 0, v7, vcc_lo
	v_cmp_nlt_f32_e32 vcc_lo, 0x42b17218, v13
	v_trunc_f32_e32 v14, v11
	v_cndmask_b32_e32 v7, 0x7f800000, v7, vcc_lo
	v_cmp_eq_f32_e32 vcc_lo, v10, v8
	v_cmp_neq_f32_e64 s0, v14, v11
	v_fma_f32 v6, v7, v6, v7
	v_cmp_class_f32_e64 s1, v7, 0x204
	s_and_b32 s0, vcc_lo, s0
	v_cndmask_b32_e64 v10, 1.0, v9, s0
	v_cndmask_b32_e64 v12, 0, v9, s0
	v_cndmask_b32_e64 v6, v6, v7, s1
	;; [unrolled: 1-line block ×3, first 2 shown]
	v_cmp_gt_f32_e64 s1, 0, v8
	v_cmp_class_f32_e64 s0, v9, 0x204
	v_bfi_b32 v6, 0x7fffffff, v6, v10
	s_xor_b32 s1, s1, s2
	v_cndmask_b32_e64 v10, 0x7f800000, 0, s1
	v_cndmask_b32_e32 v11, 0x7fc00000, v6, vcc_lo
	v_cmp_neq_f32_e64 vcc_lo, |v9|, 1.0
	v_bfi_b32 v10, 0x7fffffff, v10, v12
	v_cndmask_b32_e32 v7, 1.0, v7, vcc_lo
	v_cmp_gt_f32_e32 vcc_lo, 0, v9
	v_cndmask_b32_e32 v6, v6, v11, vcc_lo
	v_cmp_class_f32_e64 vcc_lo, v8, 0x204
	v_cndmask_b32_e32 v6, v6, v7, vcc_lo
	s_or_b32 vcc_lo, s2, s0
	v_cndmask_b32_e32 v6, v6, v10, vcc_lo
	v_cmp_o_f32_e32 vcc_lo, v9, v8
	v_cndmask_b32_e32 v6, 0x7fc00000, v6, vcc_lo
	v_add_co_u32 v0, vcc_lo, v0, s8
	v_add_co_ci_u32_e64 v1, null, s9, v1, vcc_lo
	v_bfe_u32 v7, v6, 16, 1
	v_cmp_o_f32_e32 vcc_lo, v6, v6
	v_add3_u32 v7, v6, v7, 0x7fff
	v_lshrrev_b32_e32 v7, 16, v7
	v_cndmask_b32_e32 v6, 0x7fc0, v7, vcc_lo
	v_sub_co_u32 v2, vcc_lo, v2, s8
	v_subrev_co_ci_u32_e64 v3, null, s9, v3, vcc_lo
	v_cmp_le_i32_e32 vcc_lo, s3, v0
	global_store_short v[4:5], v6, off
	v_add_co_u32 v4, s0, v4, s6
	v_add_co_ci_u32_e64 v5, null, s7, v5, s0
	s_or_b32 s10, vcc_lo, s10
	s_andn2_b32 exec_lo, exec_lo, s10
	s_cbranch_execz .LBB44_7
.LBB44_3:                               ; =>This Inner Loop Header: Depth=1
	s_mov_b32 s0, exec_lo
                                        ; implicit-def: $vgpr6
	v_cmpx_le_i64_e64 s[4:5], v[0:1]
	s_xor_b32 s0, exec_lo, s0
	s_cbranch_execz .LBB44_5
; %bb.4:                                ;   in Loop: Header=BB44_3 Depth=1
	v_xor_b32_e32 v6, v2, v3
	v_ffbh_i32_e32 v7, v3
	v_ashrrev_i32_e32 v6, 31, v6
	v_add_nc_u32_e32 v7, -1, v7
	v_add_nc_u32_e32 v6, 32, v6
	v_min_u32_e32 v8, v7, v6
	v_lshlrev_b64 v[6:7], v8, v[2:3]
	v_min_u32_e32 v6, 1, v6
	v_or_b32_e32 v6, v7, v6
	v_sub_nc_u32_e32 v7, 32, v8
	v_cvt_f32_i32_e32 v6, v6
	v_ldexp_f32 v6, v6, v7
	v_bfe_u32 v7, v6, 16, 1
	v_add3_u32 v6, v6, v7, 0x7fff
	v_and_b32_e32 v6, 0xffff0000, v6
	v_mul_f32_e32 v6, s11, v6
	v_bfe_u32 v7, v6, 16, 1
	v_cmp_o_f32_e32 vcc_lo, v6, v6
	v_add3_u32 v7, v6, v7, 0x7fff
	v_and_b32_e32 v7, 0xffff0000, v7
	v_cndmask_b32_e32 v6, 0x7fc00000, v7, vcc_lo
	v_sub_f32_e32 v6, s12, v6
.LBB44_5:                               ;   in Loop: Header=BB44_3 Depth=1
	s_andn2_saveexec_b32 s0, s0
	s_cbranch_execz .LBB44_2
; %bb.6:                                ;   in Loop: Header=BB44_3 Depth=1
	v_cvt_f32_i32_e32 v6, v0
	v_bfe_u32 v7, v6, 16, 1
	v_add3_u32 v6, v6, v7, 0x7fff
	v_and_b32_e32 v6, 0xffff0000, v6
	v_mul_f32_e32 v6, s11, v6
	v_bfe_u32 v7, v6, 16, 1
	v_cmp_o_f32_e32 vcc_lo, v6, v6
	v_add3_u32 v7, v6, v7, 0x7fff
	v_and_b32_e32 v7, 0xffff0000, v7
	v_cndmask_b32_e32 v6, 0x7fc00000, v7, vcc_lo
	v_add_f32_e32 v6, s15, v6
	s_branch .LBB44_2
.LBB44_7:
	s_endpgm
	.section	.rodata,"a",@progbits
	.p2align	6, 0x0
	.amdhsa_kernel _ZN12_GLOBAL__N_141elementwise_kernel_with_index_grid_strideIiZZZN2at6native17logspace_cuda_outERKN3c106ScalarES6_ldRNS1_6TensorEENKUlvE0_clEvENKUlvE4_clEvEUllE_EEvT_T0_PN15function_traitsISD_E11result_typeE
		.amdhsa_group_segment_fixed_size 0
		.amdhsa_private_segment_fixed_size 0
		.amdhsa_kernarg_size 304
		.amdhsa_user_sgpr_count 6
		.amdhsa_user_sgpr_private_segment_buffer 1
		.amdhsa_user_sgpr_dispatch_ptr 0
		.amdhsa_user_sgpr_queue_ptr 0
		.amdhsa_user_sgpr_kernarg_segment_ptr 1
		.amdhsa_user_sgpr_dispatch_id 0
		.amdhsa_user_sgpr_flat_scratch_init 0
		.amdhsa_user_sgpr_private_segment_size 0
		.amdhsa_wavefront_size32 1
		.amdhsa_uses_dynamic_stack 0
		.amdhsa_system_sgpr_private_segment_wavefront_offset 0
		.amdhsa_system_sgpr_workgroup_id_x 1
		.amdhsa_system_sgpr_workgroup_id_y 0
		.amdhsa_system_sgpr_workgroup_id_z 0
		.amdhsa_system_sgpr_workgroup_info 0
		.amdhsa_system_vgpr_workitem_id 0
		.amdhsa_next_free_vgpr 20
		.amdhsa_next_free_sgpr 20
		.amdhsa_reserve_vcc 1
		.amdhsa_reserve_flat_scratch 0
		.amdhsa_float_round_mode_32 0
		.amdhsa_float_round_mode_16_64 0
		.amdhsa_float_denorm_mode_32 3
		.amdhsa_float_denorm_mode_16_64 3
		.amdhsa_dx10_clamp 1
		.amdhsa_ieee_mode 1
		.amdhsa_fp16_overflow 0
		.amdhsa_workgroup_processor_mode 1
		.amdhsa_memory_ordered 1
		.amdhsa_forward_progress 1
		.amdhsa_shared_vgpr_count 0
		.amdhsa_exception_fp_ieee_invalid_op 0
		.amdhsa_exception_fp_denorm_src 0
		.amdhsa_exception_fp_ieee_div_zero 0
		.amdhsa_exception_fp_ieee_overflow 0
		.amdhsa_exception_fp_ieee_underflow 0
		.amdhsa_exception_fp_ieee_inexact 0
		.amdhsa_exception_int_div_zero 0
	.end_amdhsa_kernel
	.section	.text._ZN12_GLOBAL__N_141elementwise_kernel_with_index_grid_strideIiZZZN2at6native17logspace_cuda_outERKN3c106ScalarES6_ldRNS1_6TensorEENKUlvE0_clEvENKUlvE4_clEvEUllE_EEvT_T0_PN15function_traitsISD_E11result_typeE,"axG",@progbits,_ZN12_GLOBAL__N_141elementwise_kernel_with_index_grid_strideIiZZZN2at6native17logspace_cuda_outERKN3c106ScalarES6_ldRNS1_6TensorEENKUlvE0_clEvENKUlvE4_clEvEUllE_EEvT_T0_PN15function_traitsISD_E11result_typeE,comdat
.Lfunc_end44:
	.size	_ZN12_GLOBAL__N_141elementwise_kernel_with_index_grid_strideIiZZZN2at6native17logspace_cuda_outERKN3c106ScalarES6_ldRNS1_6TensorEENKUlvE0_clEvENKUlvE4_clEvEUllE_EEvT_T0_PN15function_traitsISD_E11result_typeE, .Lfunc_end44-_ZN12_GLOBAL__N_141elementwise_kernel_with_index_grid_strideIiZZZN2at6native17logspace_cuda_outERKN3c106ScalarES6_ldRNS1_6TensorEENKUlvE0_clEvENKUlvE4_clEvEUllE_EEvT_T0_PN15function_traitsISD_E11result_typeE
                                        ; -- End function
	.set _ZN12_GLOBAL__N_141elementwise_kernel_with_index_grid_strideIiZZZN2at6native17logspace_cuda_outERKN3c106ScalarES6_ldRNS1_6TensorEENKUlvE0_clEvENKUlvE4_clEvEUllE_EEvT_T0_PN15function_traitsISD_E11result_typeE.num_vgpr, 20
	.set _ZN12_GLOBAL__N_141elementwise_kernel_with_index_grid_strideIiZZZN2at6native17logspace_cuda_outERKN3c106ScalarES6_ldRNS1_6TensorEENKUlvE0_clEvENKUlvE4_clEvEUllE_EEvT_T0_PN15function_traitsISD_E11result_typeE.num_agpr, 0
	.set _ZN12_GLOBAL__N_141elementwise_kernel_with_index_grid_strideIiZZZN2at6native17logspace_cuda_outERKN3c106ScalarES6_ldRNS1_6TensorEENKUlvE0_clEvENKUlvE4_clEvEUllE_EEvT_T0_PN15function_traitsISD_E11result_typeE.numbered_sgpr, 20
	.set _ZN12_GLOBAL__N_141elementwise_kernel_with_index_grid_strideIiZZZN2at6native17logspace_cuda_outERKN3c106ScalarES6_ldRNS1_6TensorEENKUlvE0_clEvENKUlvE4_clEvEUllE_EEvT_T0_PN15function_traitsISD_E11result_typeE.num_named_barrier, 0
	.set _ZN12_GLOBAL__N_141elementwise_kernel_with_index_grid_strideIiZZZN2at6native17logspace_cuda_outERKN3c106ScalarES6_ldRNS1_6TensorEENKUlvE0_clEvENKUlvE4_clEvEUllE_EEvT_T0_PN15function_traitsISD_E11result_typeE.private_seg_size, 0
	.set _ZN12_GLOBAL__N_141elementwise_kernel_with_index_grid_strideIiZZZN2at6native17logspace_cuda_outERKN3c106ScalarES6_ldRNS1_6TensorEENKUlvE0_clEvENKUlvE4_clEvEUllE_EEvT_T0_PN15function_traitsISD_E11result_typeE.uses_vcc, 1
	.set _ZN12_GLOBAL__N_141elementwise_kernel_with_index_grid_strideIiZZZN2at6native17logspace_cuda_outERKN3c106ScalarES6_ldRNS1_6TensorEENKUlvE0_clEvENKUlvE4_clEvEUllE_EEvT_T0_PN15function_traitsISD_E11result_typeE.uses_flat_scratch, 0
	.set _ZN12_GLOBAL__N_141elementwise_kernel_with_index_grid_strideIiZZZN2at6native17logspace_cuda_outERKN3c106ScalarES6_ldRNS1_6TensorEENKUlvE0_clEvENKUlvE4_clEvEUllE_EEvT_T0_PN15function_traitsISD_E11result_typeE.has_dyn_sized_stack, 0
	.set _ZN12_GLOBAL__N_141elementwise_kernel_with_index_grid_strideIiZZZN2at6native17logspace_cuda_outERKN3c106ScalarES6_ldRNS1_6TensorEENKUlvE0_clEvENKUlvE4_clEvEUllE_EEvT_T0_PN15function_traitsISD_E11result_typeE.has_recursion, 0
	.set _ZN12_GLOBAL__N_141elementwise_kernel_with_index_grid_strideIiZZZN2at6native17logspace_cuda_outERKN3c106ScalarES6_ldRNS1_6TensorEENKUlvE0_clEvENKUlvE4_clEvEUllE_EEvT_T0_PN15function_traitsISD_E11result_typeE.has_indirect_call, 0
	.section	.AMDGPU.csdata,"",@progbits
; Kernel info:
; codeLenInByte = 1528
; TotalNumSgprs: 22
; NumVgprs: 20
; ScratchSize: 0
; MemoryBound: 0
; FloatMode: 240
; IeeeMode: 1
; LDSByteSize: 0 bytes/workgroup (compile time only)
; SGPRBlocks: 0
; VGPRBlocks: 2
; NumSGPRsForWavesPerEU: 22
; NumVGPRsForWavesPerEU: 20
; Occupancy: 16
; WaveLimiterHint : 0
; COMPUTE_PGM_RSRC2:SCRATCH_EN: 0
; COMPUTE_PGM_RSRC2:USER_SGPR: 6
; COMPUTE_PGM_RSRC2:TRAP_HANDLER: 0
; COMPUTE_PGM_RSRC2:TGID_X_EN: 1
; COMPUTE_PGM_RSRC2:TGID_Y_EN: 0
; COMPUTE_PGM_RSRC2:TGID_Z_EN: 0
; COMPUTE_PGM_RSRC2:TIDIG_COMP_CNT: 0
	.section	.text._ZN12_GLOBAL__N_141elementwise_kernel_with_index_grid_strideIlZZZN2at6native17logspace_cuda_outERKN3c106ScalarES6_ldRNS1_6TensorEENKUlvE0_clEvENKUlvE4_clEvEUllE_EEvT_T0_PN15function_traitsISD_E11result_typeE,"axG",@progbits,_ZN12_GLOBAL__N_141elementwise_kernel_with_index_grid_strideIlZZZN2at6native17logspace_cuda_outERKN3c106ScalarES6_ldRNS1_6TensorEENKUlvE0_clEvENKUlvE4_clEvEUllE_EEvT_T0_PN15function_traitsISD_E11result_typeE,comdat
	.globl	_ZN12_GLOBAL__N_141elementwise_kernel_with_index_grid_strideIlZZZN2at6native17logspace_cuda_outERKN3c106ScalarES6_ldRNS1_6TensorEENKUlvE0_clEvENKUlvE4_clEvEUllE_EEvT_T0_PN15function_traitsISD_E11result_typeE ; -- Begin function _ZN12_GLOBAL__N_141elementwise_kernel_with_index_grid_strideIlZZZN2at6native17logspace_cuda_outERKN3c106ScalarES6_ldRNS1_6TensorEENKUlvE0_clEvENKUlvE4_clEvEUllE_EEvT_T0_PN15function_traitsISD_E11result_typeE
	.p2align	8
	.type	_ZN12_GLOBAL__N_141elementwise_kernel_with_index_grid_strideIlZZZN2at6native17logspace_cuda_outERKN3c106ScalarES6_ldRNS1_6TensorEENKUlvE0_clEvENKUlvE4_clEvEUllE_EEvT_T0_PN15function_traitsISD_E11result_typeE,@function
_ZN12_GLOBAL__N_141elementwise_kernel_with_index_grid_strideIlZZZN2at6native17logspace_cuda_outERKN3c106ScalarES6_ldRNS1_6TensorEENKUlvE0_clEvENKUlvE4_clEvEUllE_EEvT_T0_PN15function_traitsISD_E11result_typeE: ; @_ZN12_GLOBAL__N_141elementwise_kernel_with_index_grid_strideIlZZZN2at6native17logspace_cuda_outERKN3c106ScalarES6_ldRNS1_6TensorEENKUlvE0_clEvENKUlvE4_clEvEUllE_EEvT_T0_PN15function_traitsISD_E11result_typeE
; %bb.0:
	s_clause 0x1
	s_load_dword s2, s[4:5], 0x3c
	s_load_dwordx2 s[8:9], s[4:5], 0x0
	v_mov_b32_e32 v1, 0
	s_add_u32 s0, s4, 48
	s_addc_u32 s1, s5, 0
	s_mov_b32 s3, exec_lo
	s_waitcnt lgkmcnt(0)
	s_and_b32 s2, s2, 0xffff
	v_mad_u64_u32 v[0:1], null, s2, s6, v[0:1]
	v_cmpx_gt_i64_e64 s[8:9], v[0:1]
	s_cbranch_execz .LBB45_7
; %bb.1:
	s_load_dword s0, s[0:1], 0x0
	s_clause 0x2
	s_load_dword s1, s[4:5], 0x18
	s_load_dwordx4 s[16:19], s[4:5], 0x8
	s_load_dwordx4 s[4:7], s[4:5], 0x20
	v_not_b32_e32 v2, v0
	v_lshlrev_b64 v[4:5], 1, v[0:1]
	v_not_b32_e32 v3, v1
	s_mov_b32 s3, 0
	s_waitcnt lgkmcnt(0)
	s_mul_hi_u32 s11, s2, s0
	s_mul_i32 s10, s2, s0
	v_add_co_u32 v2, vcc_lo, v2, s18
	s_lshl_b32 s14, s17, 16
	v_add_co_ci_u32_e64 v3, null, s19, v3, vcc_lo
	v_add_co_u32 v4, vcc_lo, s6, v4
	v_cmp_eq_f32_e64 s15, s14, 1.0
	v_add_co_ci_u32_e64 v5, null, s7, v5, vcc_lo
	s_lshl_b32 s12, s1, 16
	s_pack_lh_b32_b16 s13, 0, s16
	s_lshl_b32 s16, s16, 16
	s_lshl_b64 s[6:7], s[10:11], 1
	s_mov_b32 s17, 0x3e76c4e1
	s_branch .LBB45_3
.LBB45_2:                               ;   in Loop: Header=BB45_3 Depth=1
	s_or_b32 exec_lo, exec_lo, s0
	v_bfe_u32 v7, v6, 16, 1
	v_cmp_o_f32_e32 vcc_lo, v6, v6
	v_add3_u32 v7, v6, v7, 0x7fff
	v_and_b32_e32 v7, 0xffff0000, v7
	v_cndmask_b32_e32 v6, 0x7fc00000, v7, vcc_lo
	v_cndmask_b32_e64 v8, v6, 1.0, s15
	v_cmp_neq_f32_e32 vcc_lo, 0, v8
	v_cmp_neq_f32_e64 s18, v8, |v8|
	v_cndmask_b32_e64 v9, 1.0, s14, vcc_lo
	v_frexp_mant_f32_e64 v6, |v9|
	v_cmp_lt_f32_e64 s19, |v9|, 1.0
	v_cmp_eq_f32_e64 s2, 0, v9
	v_cmp_gt_f32_e32 vcc_lo, 0x3f2aaaab, v6
	s_xor_b32 s18, s18, s19
	v_cndmask_b32_e64 v7, 1.0, 2.0, vcc_lo
	v_mul_f32_e32 v6, v6, v7
	v_add_f32_e32 v7, 1.0, v6
	v_add_f32_e32 v11, -1.0, v6
	v_rcp_f32_e32 v10, v7
	v_add_f32_e32 v13, -1.0, v7
	v_sub_f32_e32 v6, v6, v13
	v_mul_f32_e32 v12, v11, v10
	v_mul_f32_e32 v14, v7, v12
	v_fma_f32 v7, v12, v7, -v14
	v_fmac_f32_e32 v7, v12, v6
	v_add_f32_e32 v6, v14, v7
	v_sub_f32_e32 v13, v11, v6
	v_sub_f32_e32 v14, v6, v14
	;; [unrolled: 1-line block ×5, first 2 shown]
	v_add_f32_e32 v6, v7, v6
	v_add_f32_e32 v6, v13, v6
	v_mul_f32_e32 v6, v10, v6
	v_add_f32_e32 v10, v12, v6
	v_sub_f32_e32 v7, v10, v12
	v_mul_f32_e32 v11, v10, v10
	v_sub_f32_e32 v12, v6, v7
	v_fma_f32 v6, v10, v10, -v11
	v_add_f32_e32 v7, v12, v12
	v_fmac_f32_e32 v6, v10, v7
	v_add_f32_e32 v13, v11, v6
	v_fmaak_f32 v7, s17, v13, 0x3e91f4c4
	v_sub_f32_e32 v11, v13, v11
	v_mul_f32_e32 v18, v10, v13
	v_fmaak_f32 v7, v13, v7, 0x3ecccdef
	v_sub_f32_e32 v11, v6, v11
	v_fma_f32 v19, v13, v10, -v18
	v_mul_f32_e32 v14, v13, v7
	v_fmac_f32_e32 v19, v13, v12
	v_ldexp_f32 v12, v12, 1
	v_fma_f32 v15, v13, v7, -v14
	v_fmac_f32_e32 v19, v11, v10
	v_fmac_f32_e32 v15, v11, v7
	v_cvt_f64_f32_e64 v[6:7], |v9|
	v_add_f32_e32 v16, v14, v15
	v_sub_f32_e32 v14, v16, v14
	v_add_f32_e32 v17, 0x3f2aaaaa, v16
	v_sub_f32_e32 v14, v15, v14
	v_add_f32_e32 v15, 0xbf2aaaaa, v17
	v_add_f32_e32 v14, 0x31739010, v14
	v_sub_f32_e32 v15, v16, v15
	v_frexp_exp_i32_f64_e32 v6, v[6:7]
	v_add_f32_e32 v13, v14, v15
	v_add_f32_e32 v14, v18, v19
	v_add_f32_e32 v11, v17, v13
	v_sub_f32_e32 v16, v14, v18
	v_sub_f32_e32 v7, v17, v11
	v_mul_f32_e32 v15, v14, v11
	v_sub_f32_e32 v16, v19, v16
	v_add_f32_e32 v7, v13, v7
	v_fma_f32 v13, v14, v11, -v15
	v_subrev_co_ci_u32_e64 v6, null, 0, v6, vcc_lo
	v_fmac_f32_e32 v13, v14, v7
	v_ldexp_f32 v7, v10, 1
	v_cvt_f32_i32_e32 v6, v6
	v_fmac_f32_e32 v13, v16, v11
	v_add_f32_e32 v10, v15, v13
	v_add_f32_e32 v11, v7, v10
	v_sub_f32_e32 v14, v10, v15
	v_mul_f32_e32 v15, 0x3f317218, v6
	v_sub_f32_e32 v7, v11, v7
	v_sub_f32_e32 v13, v13, v14
	v_fma_f32 v14, 0x3f317218, v6, -v15
	v_sub_f32_e32 v7, v10, v7
	v_add_f32_e32 v10, v12, v13
	v_fmac_f32_e32 v14, 0xb102e308, v6
	v_add_f32_e32 v6, v10, v7
	v_add_f32_e32 v7, v15, v14
	;; [unrolled: 1-line block ×3, first 2 shown]
	v_sub_f32_e32 v15, v7, v15
	v_add_f32_e32 v12, v7, v10
	v_sub_f32_e32 v11, v10, v11
	v_sub_f32_e32 v14, v14, v15
	v_sub_f32_e32 v13, v12, v7
	v_sub_f32_e32 v6, v6, v11
	v_sub_f32_e32 v16, v12, v13
	v_sub_f32_e32 v10, v10, v13
	v_add_f32_e32 v11, v14, v6
	v_sub_f32_e32 v7, v7, v16
	v_add_f32_e32 v7, v10, v7
	v_sub_f32_e32 v10, v11, v14
	;; [unrolled: 2-line block ×3, first 2 shown]
	v_sub_f32_e32 v6, v6, v10
	v_add_f32_e32 v13, v12, v7
	v_sub_f32_e32 v10, v14, v11
	v_sub_f32_e32 v11, v13, v12
	v_add_f32_e32 v6, v6, v10
	v_sub_f32_e32 v7, v7, v11
	v_add_f32_e32 v6, v6, v7
	v_add_f32_e32 v7, v13, v6
	v_sub_f32_e32 v10, v7, v13
	v_mul_f32_e32 v11, v8, v7
	v_sub_f32_e32 v6, v6, v10
	v_fma_f32 v7, v8, v7, -v11
	v_cmp_class_f32_e64 vcc_lo, v11, 0x204
	v_fmac_f32_e32 v7, v8, v6
	v_add_f32_e32 v6, v11, v7
	v_cndmask_b32_e32 v10, v6, v11, vcc_lo
	v_sub_f32_e32 v6, v6, v11
	v_cmp_eq_f32_e32 vcc_lo, 0x42b17218, v10
	v_sub_f32_e32 v6, v7, v6
	v_cndmask_b32_e64 v12, 0, 0x37000000, vcc_lo
	v_cmp_neq_f32_e64 vcc_lo, 0x7f800000, |v10|
	v_sub_f32_e32 v13, v10, v12
	v_cndmask_b32_e32 v6, 0, v6, vcc_lo
	v_trunc_f32_e32 v10, v8
	v_mul_f32_e32 v14, 0x3fb8aa3b, v13
	v_cmp_ngt_f32_e32 vcc_lo, 0xc2ce8ed0, v13
	v_add_f32_e32 v6, v12, v6
	v_fma_f32 v15, 0x3fb8aa3b, v13, -v14
	v_rndne_f32_e32 v16, v14
	v_fmac_f32_e32 v15, 0x32a5705f, v13
	v_sub_f32_e32 v14, v14, v16
	v_cvt_i32_f32_e32 v11, v16
	v_add_f32_e32 v14, v14, v15
	v_exp_f32_e32 v14, v14
	v_ldexp_f32 v7, v14, v11
	v_mul_f32_e32 v11, 0.5, v8
	v_cndmask_b32_e32 v7, 0, v7, vcc_lo
	v_cmp_nlt_f32_e32 vcc_lo, 0x42b17218, v13
	v_trunc_f32_e32 v14, v11
	v_cndmask_b32_e32 v7, 0x7f800000, v7, vcc_lo
	v_cmp_eq_f32_e32 vcc_lo, v10, v8
	v_cmp_neq_f32_e64 s0, v14, v11
	v_fma_f32 v6, v7, v6, v7
	v_cmp_class_f32_e64 s1, v7, 0x204
	s_and_b32 s0, vcc_lo, s0
	v_cndmask_b32_e64 v10, 1.0, v9, s0
	v_cndmask_b32_e64 v12, 0, v9, s0
	v_cndmask_b32_e64 v6, v6, v7, s1
	v_cndmask_b32_e64 v7, 0x7f800000, 0, s18
	v_cmp_gt_f32_e64 s1, 0, v8
	v_cmp_class_f32_e64 s0, v9, 0x204
	v_bfi_b32 v6, 0x7fffffff, v6, v10
	s_xor_b32 s1, s1, s2
	v_cndmask_b32_e64 v10, 0x7f800000, 0, s1
	v_cndmask_b32_e32 v11, 0x7fc00000, v6, vcc_lo
	v_cmp_neq_f32_e64 vcc_lo, |v9|, 1.0
	v_bfi_b32 v10, 0x7fffffff, v10, v12
	v_cndmask_b32_e32 v7, 1.0, v7, vcc_lo
	v_cmp_gt_f32_e32 vcc_lo, 0, v9
	v_cndmask_b32_e32 v6, v6, v11, vcc_lo
	v_cmp_class_f32_e64 vcc_lo, v8, 0x204
	v_cndmask_b32_e32 v6, v6, v7, vcc_lo
	s_or_b32 vcc_lo, s2, s0
	v_cndmask_b32_e32 v6, v6, v10, vcc_lo
	v_cmp_o_f32_e32 vcc_lo, v9, v8
	v_cndmask_b32_e32 v6, 0x7fc00000, v6, vcc_lo
	v_add_co_u32 v0, vcc_lo, v0, s10
	v_add_co_ci_u32_e64 v1, null, s11, v1, vcc_lo
	v_bfe_u32 v7, v6, 16, 1
	v_cmp_o_f32_e32 vcc_lo, v6, v6
	v_add3_u32 v7, v6, v7, 0x7fff
	v_lshrrev_b32_e32 v7, 16, v7
	v_cndmask_b32_e32 v6, 0x7fc0, v7, vcc_lo
	v_sub_co_u32 v2, vcc_lo, v2, s10
	v_subrev_co_ci_u32_e64 v3, null, s11, v3, vcc_lo
	v_cmp_le_i64_e32 vcc_lo, s[8:9], v[0:1]
	global_store_short v[4:5], v6, off
	v_add_co_u32 v4, s0, v4, s6
	v_add_co_ci_u32_e64 v5, null, s7, v5, s0
	s_or_b32 s3, vcc_lo, s3
	s_andn2_b32 exec_lo, exec_lo, s3
	s_cbranch_execz .LBB45_7
.LBB45_3:                               ; =>This Inner Loop Header: Depth=1
	s_mov_b32 s0, exec_lo
                                        ; implicit-def: $vgpr6
	v_cmpx_le_i64_e64 s[4:5], v[0:1]
	s_xor_b32 s0, exec_lo, s0
	s_cbranch_execz .LBB45_5
; %bb.4:                                ;   in Loop: Header=BB45_3 Depth=1
	v_xor_b32_e32 v6, v2, v3
	v_ffbh_i32_e32 v7, v3
	v_ashrrev_i32_e32 v6, 31, v6
	v_add_nc_u32_e32 v7, -1, v7
	v_add_nc_u32_e32 v6, 32, v6
	v_min_u32_e32 v8, v7, v6
	v_lshlrev_b64 v[6:7], v8, v[2:3]
	v_min_u32_e32 v6, 1, v6
	v_or_b32_e32 v6, v7, v6
	v_sub_nc_u32_e32 v7, 32, v8
	v_cvt_f32_i32_e32 v6, v6
	v_ldexp_f32 v6, v6, v7
	v_bfe_u32 v7, v6, 16, 1
	v_add3_u32 v6, v6, v7, 0x7fff
	v_and_b32_e32 v6, 0xffff0000, v6
	v_mul_f32_e32 v6, s12, v6
	v_bfe_u32 v7, v6, 16, 1
	v_cmp_o_f32_e32 vcc_lo, v6, v6
	v_add3_u32 v7, v6, v7, 0x7fff
	v_and_b32_e32 v7, 0xffff0000, v7
	v_cndmask_b32_e32 v6, 0x7fc00000, v7, vcc_lo
	v_sub_f32_e32 v6, s13, v6
.LBB45_5:                               ;   in Loop: Header=BB45_3 Depth=1
	s_andn2_saveexec_b32 s0, s0
	s_cbranch_execz .LBB45_2
; %bb.6:                                ;   in Loop: Header=BB45_3 Depth=1
	v_ffbh_u32_e32 v6, v1
	v_min_u32_e32 v8, 32, v6
	v_lshlrev_b64 v[6:7], v8, v[0:1]
	v_min_u32_e32 v6, 1, v6
	v_or_b32_e32 v6, v7, v6
	v_sub_nc_u32_e32 v7, 32, v8
	v_cvt_f32_u32_e32 v6, v6
	v_ldexp_f32 v6, v6, v7
	v_bfe_u32 v7, v6, 16, 1
	v_add3_u32 v6, v6, v7, 0x7fff
	v_and_b32_e32 v6, 0xffff0000, v6
	v_mul_f32_e32 v6, s12, v6
	v_bfe_u32 v7, v6, 16, 1
	v_cmp_o_f32_e32 vcc_lo, v6, v6
	v_add3_u32 v7, v6, v7, 0x7fff
	v_and_b32_e32 v7, 0xffff0000, v7
	v_cndmask_b32_e32 v6, 0x7fc00000, v7, vcc_lo
	v_add_f32_e32 v6, s16, v6
	s_branch .LBB45_2
.LBB45_7:
	s_endpgm
	.section	.rodata,"a",@progbits
	.p2align	6, 0x0
	.amdhsa_kernel _ZN12_GLOBAL__N_141elementwise_kernel_with_index_grid_strideIlZZZN2at6native17logspace_cuda_outERKN3c106ScalarES6_ldRNS1_6TensorEENKUlvE0_clEvENKUlvE4_clEvEUllE_EEvT_T0_PN15function_traitsISD_E11result_typeE
		.amdhsa_group_segment_fixed_size 0
		.amdhsa_private_segment_fixed_size 0
		.amdhsa_kernarg_size 304
		.amdhsa_user_sgpr_count 6
		.amdhsa_user_sgpr_private_segment_buffer 1
		.amdhsa_user_sgpr_dispatch_ptr 0
		.amdhsa_user_sgpr_queue_ptr 0
		.amdhsa_user_sgpr_kernarg_segment_ptr 1
		.amdhsa_user_sgpr_dispatch_id 0
		.amdhsa_user_sgpr_flat_scratch_init 0
		.amdhsa_user_sgpr_private_segment_size 0
		.amdhsa_wavefront_size32 1
		.amdhsa_uses_dynamic_stack 0
		.amdhsa_system_sgpr_private_segment_wavefront_offset 0
		.amdhsa_system_sgpr_workgroup_id_x 1
		.amdhsa_system_sgpr_workgroup_id_y 0
		.amdhsa_system_sgpr_workgroup_id_z 0
		.amdhsa_system_sgpr_workgroup_info 0
		.amdhsa_system_vgpr_workitem_id 0
		.amdhsa_next_free_vgpr 20
		.amdhsa_next_free_sgpr 20
		.amdhsa_reserve_vcc 1
		.amdhsa_reserve_flat_scratch 0
		.amdhsa_float_round_mode_32 0
		.amdhsa_float_round_mode_16_64 0
		.amdhsa_float_denorm_mode_32 3
		.amdhsa_float_denorm_mode_16_64 3
		.amdhsa_dx10_clamp 1
		.amdhsa_ieee_mode 1
		.amdhsa_fp16_overflow 0
		.amdhsa_workgroup_processor_mode 1
		.amdhsa_memory_ordered 1
		.amdhsa_forward_progress 1
		.amdhsa_shared_vgpr_count 0
		.amdhsa_exception_fp_ieee_invalid_op 0
		.amdhsa_exception_fp_denorm_src 0
		.amdhsa_exception_fp_ieee_div_zero 0
		.amdhsa_exception_fp_ieee_overflow 0
		.amdhsa_exception_fp_ieee_underflow 0
		.amdhsa_exception_fp_ieee_inexact 0
		.amdhsa_exception_int_div_zero 0
	.end_amdhsa_kernel
	.section	.text._ZN12_GLOBAL__N_141elementwise_kernel_with_index_grid_strideIlZZZN2at6native17logspace_cuda_outERKN3c106ScalarES6_ldRNS1_6TensorEENKUlvE0_clEvENKUlvE4_clEvEUllE_EEvT_T0_PN15function_traitsISD_E11result_typeE,"axG",@progbits,_ZN12_GLOBAL__N_141elementwise_kernel_with_index_grid_strideIlZZZN2at6native17logspace_cuda_outERKN3c106ScalarES6_ldRNS1_6TensorEENKUlvE0_clEvENKUlvE4_clEvEUllE_EEvT_T0_PN15function_traitsISD_E11result_typeE,comdat
.Lfunc_end45:
	.size	_ZN12_GLOBAL__N_141elementwise_kernel_with_index_grid_strideIlZZZN2at6native17logspace_cuda_outERKN3c106ScalarES6_ldRNS1_6TensorEENKUlvE0_clEvENKUlvE4_clEvEUllE_EEvT_T0_PN15function_traitsISD_E11result_typeE, .Lfunc_end45-_ZN12_GLOBAL__N_141elementwise_kernel_with_index_grid_strideIlZZZN2at6native17logspace_cuda_outERKN3c106ScalarES6_ldRNS1_6TensorEENKUlvE0_clEvENKUlvE4_clEvEUllE_EEvT_T0_PN15function_traitsISD_E11result_typeE
                                        ; -- End function
	.set _ZN12_GLOBAL__N_141elementwise_kernel_with_index_grid_strideIlZZZN2at6native17logspace_cuda_outERKN3c106ScalarES6_ldRNS1_6TensorEENKUlvE0_clEvENKUlvE4_clEvEUllE_EEvT_T0_PN15function_traitsISD_E11result_typeE.num_vgpr, 20
	.set _ZN12_GLOBAL__N_141elementwise_kernel_with_index_grid_strideIlZZZN2at6native17logspace_cuda_outERKN3c106ScalarES6_ldRNS1_6TensorEENKUlvE0_clEvENKUlvE4_clEvEUllE_EEvT_T0_PN15function_traitsISD_E11result_typeE.num_agpr, 0
	.set _ZN12_GLOBAL__N_141elementwise_kernel_with_index_grid_strideIlZZZN2at6native17logspace_cuda_outERKN3c106ScalarES6_ldRNS1_6TensorEENKUlvE0_clEvENKUlvE4_clEvEUllE_EEvT_T0_PN15function_traitsISD_E11result_typeE.numbered_sgpr, 20
	.set _ZN12_GLOBAL__N_141elementwise_kernel_with_index_grid_strideIlZZZN2at6native17logspace_cuda_outERKN3c106ScalarES6_ldRNS1_6TensorEENKUlvE0_clEvENKUlvE4_clEvEUllE_EEvT_T0_PN15function_traitsISD_E11result_typeE.num_named_barrier, 0
	.set _ZN12_GLOBAL__N_141elementwise_kernel_with_index_grid_strideIlZZZN2at6native17logspace_cuda_outERKN3c106ScalarES6_ldRNS1_6TensorEENKUlvE0_clEvENKUlvE4_clEvEUllE_EEvT_T0_PN15function_traitsISD_E11result_typeE.private_seg_size, 0
	.set _ZN12_GLOBAL__N_141elementwise_kernel_with_index_grid_strideIlZZZN2at6native17logspace_cuda_outERKN3c106ScalarES6_ldRNS1_6TensorEENKUlvE0_clEvENKUlvE4_clEvEUllE_EEvT_T0_PN15function_traitsISD_E11result_typeE.uses_vcc, 1
	.set _ZN12_GLOBAL__N_141elementwise_kernel_with_index_grid_strideIlZZZN2at6native17logspace_cuda_outERKN3c106ScalarES6_ldRNS1_6TensorEENKUlvE0_clEvENKUlvE4_clEvEUllE_EEvT_T0_PN15function_traitsISD_E11result_typeE.uses_flat_scratch, 0
	.set _ZN12_GLOBAL__N_141elementwise_kernel_with_index_grid_strideIlZZZN2at6native17logspace_cuda_outERKN3c106ScalarES6_ldRNS1_6TensorEENKUlvE0_clEvENKUlvE4_clEvEUllE_EEvT_T0_PN15function_traitsISD_E11result_typeE.has_dyn_sized_stack, 0
	.set _ZN12_GLOBAL__N_141elementwise_kernel_with_index_grid_strideIlZZZN2at6native17logspace_cuda_outERKN3c106ScalarES6_ldRNS1_6TensorEENKUlvE0_clEvENKUlvE4_clEvEUllE_EEvT_T0_PN15function_traitsISD_E11result_typeE.has_recursion, 0
	.set _ZN12_GLOBAL__N_141elementwise_kernel_with_index_grid_strideIlZZZN2at6native17logspace_cuda_outERKN3c106ScalarES6_ldRNS1_6TensorEENKUlvE0_clEvENKUlvE4_clEvEUllE_EEvT_T0_PN15function_traitsISD_E11result_typeE.has_indirect_call, 0
	.section	.AMDGPU.csdata,"",@progbits
; Kernel info:
; codeLenInByte = 1564
; TotalNumSgprs: 22
; NumVgprs: 20
; ScratchSize: 0
; MemoryBound: 0
; FloatMode: 240
; IeeeMode: 1
; LDSByteSize: 0 bytes/workgroup (compile time only)
; SGPRBlocks: 0
; VGPRBlocks: 2
; NumSGPRsForWavesPerEU: 22
; NumVGPRsForWavesPerEU: 20
; Occupancy: 16
; WaveLimiterHint : 0
; COMPUTE_PGM_RSRC2:SCRATCH_EN: 0
; COMPUTE_PGM_RSRC2:USER_SGPR: 6
; COMPUTE_PGM_RSRC2:TRAP_HANDLER: 0
; COMPUTE_PGM_RSRC2:TGID_X_EN: 1
; COMPUTE_PGM_RSRC2:TGID_Y_EN: 0
; COMPUTE_PGM_RSRC2:TGID_Z_EN: 0
; COMPUTE_PGM_RSRC2:TIDIG_COMP_CNT: 0
	.section	.text._ZN12_GLOBAL__N_141elementwise_kernel_with_index_grid_strideIiZZZN2at6native14range_cuda_outERKN3c106ScalarES6_S6_RNS1_6TensorEENKUlvE_clEvENKUlvE_clEvEUllE_EEvT_T0_PN15function_traitsISD_E11result_typeE,"axG",@progbits,_ZN12_GLOBAL__N_141elementwise_kernel_with_index_grid_strideIiZZZN2at6native14range_cuda_outERKN3c106ScalarES6_S6_RNS1_6TensorEENKUlvE_clEvENKUlvE_clEvEUllE_EEvT_T0_PN15function_traitsISD_E11result_typeE,comdat
	.globl	_ZN12_GLOBAL__N_141elementwise_kernel_with_index_grid_strideIiZZZN2at6native14range_cuda_outERKN3c106ScalarES6_S6_RNS1_6TensorEENKUlvE_clEvENKUlvE_clEvEUllE_EEvT_T0_PN15function_traitsISD_E11result_typeE ; -- Begin function _ZN12_GLOBAL__N_141elementwise_kernel_with_index_grid_strideIiZZZN2at6native14range_cuda_outERKN3c106ScalarES6_S6_RNS1_6TensorEENKUlvE_clEvENKUlvE_clEvEUllE_EEvT_T0_PN15function_traitsISD_E11result_typeE
	.p2align	8
	.type	_ZN12_GLOBAL__N_141elementwise_kernel_with_index_grid_strideIiZZZN2at6native14range_cuda_outERKN3c106ScalarES6_S6_RNS1_6TensorEENKUlvE_clEvENKUlvE_clEvEUllE_EEvT_T0_PN15function_traitsISD_E11result_typeE,@function
_ZN12_GLOBAL__N_141elementwise_kernel_with_index_grid_strideIiZZZN2at6native14range_cuda_outERKN3c106ScalarES6_S6_RNS1_6TensorEENKUlvE_clEvENKUlvE_clEvEUllE_EEvT_T0_PN15function_traitsISD_E11result_typeE: ; @_ZN12_GLOBAL__N_141elementwise_kernel_with_index_grid_strideIiZZZN2at6native14range_cuda_outERKN3c106ScalarES6_S6_RNS1_6TensorEENKUlvE_clEvENKUlvE_clEvEUllE_EEvT_T0_PN15function_traitsISD_E11result_typeE
; %bb.0:
	s_clause 0x1
	s_load_dword s2, s[4:5], 0x2c
	s_load_dword s3, s[4:5], 0x0
	s_add_u32 s0, s4, 32
	s_addc_u32 s1, s5, 0
	s_mov_b32 s7, exec_lo
	s_waitcnt lgkmcnt(0)
	s_and_b32 s2, s2, 0xffff
	v_mad_u64_u32 v[1:2], null, s6, s2, v[0:1]
	v_cmpx_gt_i32_e64 s3, v1
	s_cbranch_execz .LBB46_8
; %bb.1:
	s_load_dword s0, s[0:1], 0x0
	s_clause 0x1
	s_load_dwordx4 s[8:11], s[4:5], 0x8
	s_load_dwordx2 s[4:5], s[4:5], 0x18
	s_mov_b32 s20, 0
	s_mov_b32 s19, exec_lo
	s_waitcnt lgkmcnt(0)
	s_mul_i32 s18, s0, s2
	s_add_i32 s0, s6, s0
	v_cvt_f32_u32_e32 v2, s18
	s_sub_i32 s1, 0, s18
	s_mul_i32 s0, s0, s2
	v_add_nc_u32_e32 v4, s0, v0
	v_rcp_iflag_f32_e32 v2, v2
	v_cmp_gt_i32_e32 vcc_lo, s3, v4
	v_max_i32_e32 v5, s3, v4
	v_add_co_ci_u32_e64 v0, null, s0, v0, vcc_lo
	v_mul_f32_e32 v2, 0x4f7ffffe, v2
	v_sub_nc_u32_e32 v0, v5, v0
	v_cvt_u32_f32_e32 v2, v2
	v_mul_lo_u32 v3, s1, v2
	v_mul_hi_u32 v3, v2, v3
	v_add_nc_u32_e32 v2, v2, v3
	v_mul_hi_u32 v2, v0, v2
	v_mul_lo_u32 v3, v2, s18
	v_sub_nc_u32_e32 v0, v0, v3
	v_add_nc_u32_e32 v3, 1, v2
	v_subrev_nc_u32_e32 v4, s18, v0
	v_cmp_le_u32_e64 s0, s18, v0
	v_cndmask_b32_e64 v2, v2, v3, s0
	v_cndmask_b32_e64 v0, v0, v4, s0
	v_add_nc_u32_e32 v3, 1, v2
	v_cmp_le_u32_e64 s0, s18, v0
	v_cndmask_b32_e64 v0, v2, v3, s0
	s_mov_b32 s0, -1
	v_add_co_ci_u32_e64 v0, null, 1, v0, vcc_lo
	v_cmpx_lt_u32_e32 3, v0
	s_cbranch_execz .LBB46_5
; %bb.2:
	v_add_nc_u32_e32 v2, s18, v1
	v_and_b32_e32 v6, -4, v0
	v_lshl_add_u32 v3, s18, 1, v1
	s_lshl_b32 s25, s18, 2
	s_mov_b32 s21, s10
	v_mad_u64_u32 v[4:5], null, s18, 3, v[1:2]
	v_mov_b32_e32 v7, v6
	s_mov_b32 s22, s10
	s_mov_b32 s23, s10
	;; [unrolled: 1-line block ×5, first 2 shown]
	v_mov_b32_e32 v5, v4
	v_mov_b32_e32 v4, v3
	;; [unrolled: 1-line block ×4, first 2 shown]
	s_mov_b32 s12, s8
	s_mov_b32 s13, s9
	;; [unrolled: 1-line block ×9, first 2 shown]
.LBB46_3:                               ; =>This Inner Loop Header: Depth=1
	v_mad_u64_u32 v[8:9], null, s21, v2, s[6:7]
	v_mad_u64_u32 v[9:10], null, s22, v3, s[12:13]
	;; [unrolled: 1-line block ×4, first 2 shown]
	v_ashrrev_i32_e32 v13, 31, v2
	v_add_nc_u32_e32 v7, -4, v7
	v_lshlrev_b16 v9, 8, v9
	v_ashrrev_i32_e32 v15, 31, v3
	v_add_co_u32 v12, vcc_lo, s4, v2
	v_lshlrev_b16 v11, 8, v11
	v_or_b32_sdwa v8, v8, v9 dst_sel:DWORD dst_unused:UNUSED_PAD src0_sel:BYTE_0 src1_sel:DWORD
	v_ashrrev_i32_e32 v17, 31, v4
	v_ashrrev_i32_e32 v19, 31, v5
	v_add_co_ci_u32_e64 v13, null, s5, v13, vcc_lo
	v_and_b32_e32 v8, 0xffff, v8
	v_or_b32_sdwa v9, v10, v11 dst_sel:DWORD dst_unused:UNUSED_PAD src0_sel:BYTE_0 src1_sel:DWORD
	v_cmp_eq_u32_e32 vcc_lo, 0, v7
	v_add_co_u32 v14, s0, s4, v3
	v_add_co_u32 v16, s1, s4, v4
	;; [unrolled: 1-line block ×3, first 2 shown]
	v_add_nc_u32_e32 v5, s28, v5
	v_add_nc_u32_e32 v4, s27, v4
	;; [unrolled: 1-line block ×4, first 2 shown]
	v_add_co_ci_u32_e64 v15, null, s5, v15, s0
	v_lshrrev_b32_e32 v11, 8, v8
	v_add_co_ci_u32_e64 v17, null, s5, v17, s1
	v_add_co_ci_u32_e64 v19, null, s5, v19, s2
	v_lshrrev_b32_e32 v10, 8, v9
	s_or_b32 s20, vcc_lo, s20
	global_store_byte v[12:13], v8, off
	global_store_byte v[14:15], v11, off
	;; [unrolled: 1-line block ×4, first 2 shown]
	s_andn2_b32 exec_lo, exec_lo, s20
	s_cbranch_execnz .LBB46_3
; %bb.4:
	s_or_b32 exec_lo, exec_lo, s20
	v_mad_u64_u32 v[1:2], null, v6, s18, v[1:2]
	v_cmp_ne_u32_e32 vcc_lo, v0, v6
	s_orn2_b32 s0, vcc_lo, exec_lo
.LBB46_5:
	s_or_b32 exec_lo, exec_lo, s19
	s_and_b32 exec_lo, exec_lo, s0
	s_cbranch_execz .LBB46_8
; %bb.6:
	v_ashrrev_i32_e32 v0, 31, v1
	v_mad_u64_u32 v[2:3], null, s10, v1, s[8:9]
	v_mul_lo_u32 v4, s11, v1
	s_ashr_i32 s1, s18, 31
	v_mul_lo_u32 v5, s10, v0
	s_mul_hi_u32 s0, s10, s18
	s_mul_i32 s2, s10, s1
	s_mul_i32 s6, s10, s18
	s_add_i32 s0, s0, s2
	s_mul_i32 s2, s11, s18
	s_mov_b32 s7, 0
	s_add_i32 s2, s0, s2
	v_add3_u32 v3, v4, v3, v5
	.p2align	6
.LBB46_7:                               ; =>This Inner Loop Header: Depth=1
	v_add_co_u32 v4, vcc_lo, s4, v1
	v_add_co_ci_u32_e64 v5, null, s5, v0, vcc_lo
	v_add_co_u32 v1, vcc_lo, v1, s18
	v_add_co_ci_u32_e64 v0, null, s1, v0, vcc_lo
	global_store_byte v[4:5], v2, off
	v_cmp_le_i32_e32 vcc_lo, s3, v1
	v_add_co_u32 v2, s0, v2, s6
	v_add_co_ci_u32_e64 v3, null, s2, v3, s0
	s_or_b32 s7, vcc_lo, s7
	s_andn2_b32 exec_lo, exec_lo, s7
	s_cbranch_execnz .LBB46_7
.LBB46_8:
	s_endpgm
	.section	.rodata,"a",@progbits
	.p2align	6, 0x0
	.amdhsa_kernel _ZN12_GLOBAL__N_141elementwise_kernel_with_index_grid_strideIiZZZN2at6native14range_cuda_outERKN3c106ScalarES6_S6_RNS1_6TensorEENKUlvE_clEvENKUlvE_clEvEUllE_EEvT_T0_PN15function_traitsISD_E11result_typeE
		.amdhsa_group_segment_fixed_size 0
		.amdhsa_private_segment_fixed_size 0
		.amdhsa_kernarg_size 288
		.amdhsa_user_sgpr_count 6
		.amdhsa_user_sgpr_private_segment_buffer 1
		.amdhsa_user_sgpr_dispatch_ptr 0
		.amdhsa_user_sgpr_queue_ptr 0
		.amdhsa_user_sgpr_kernarg_segment_ptr 1
		.amdhsa_user_sgpr_dispatch_id 0
		.amdhsa_user_sgpr_flat_scratch_init 0
		.amdhsa_user_sgpr_private_segment_size 0
		.amdhsa_wavefront_size32 1
		.amdhsa_uses_dynamic_stack 0
		.amdhsa_system_sgpr_private_segment_wavefront_offset 0
		.amdhsa_system_sgpr_workgroup_id_x 1
		.amdhsa_system_sgpr_workgroup_id_y 0
		.amdhsa_system_sgpr_workgroup_id_z 0
		.amdhsa_system_sgpr_workgroup_info 0
		.amdhsa_system_vgpr_workitem_id 0
		.amdhsa_next_free_vgpr 20
		.amdhsa_next_free_sgpr 29
		.amdhsa_reserve_vcc 1
		.amdhsa_reserve_flat_scratch 0
		.amdhsa_float_round_mode_32 0
		.amdhsa_float_round_mode_16_64 0
		.amdhsa_float_denorm_mode_32 3
		.amdhsa_float_denorm_mode_16_64 3
		.amdhsa_dx10_clamp 1
		.amdhsa_ieee_mode 1
		.amdhsa_fp16_overflow 0
		.amdhsa_workgroup_processor_mode 1
		.amdhsa_memory_ordered 1
		.amdhsa_forward_progress 1
		.amdhsa_shared_vgpr_count 0
		.amdhsa_exception_fp_ieee_invalid_op 0
		.amdhsa_exception_fp_denorm_src 0
		.amdhsa_exception_fp_ieee_div_zero 0
		.amdhsa_exception_fp_ieee_overflow 0
		.amdhsa_exception_fp_ieee_underflow 0
		.amdhsa_exception_fp_ieee_inexact 0
		.amdhsa_exception_int_div_zero 0
	.end_amdhsa_kernel
	.section	.text._ZN12_GLOBAL__N_141elementwise_kernel_with_index_grid_strideIiZZZN2at6native14range_cuda_outERKN3c106ScalarES6_S6_RNS1_6TensorEENKUlvE_clEvENKUlvE_clEvEUllE_EEvT_T0_PN15function_traitsISD_E11result_typeE,"axG",@progbits,_ZN12_GLOBAL__N_141elementwise_kernel_with_index_grid_strideIiZZZN2at6native14range_cuda_outERKN3c106ScalarES6_S6_RNS1_6TensorEENKUlvE_clEvENKUlvE_clEvEUllE_EEvT_T0_PN15function_traitsISD_E11result_typeE,comdat
.Lfunc_end46:
	.size	_ZN12_GLOBAL__N_141elementwise_kernel_with_index_grid_strideIiZZZN2at6native14range_cuda_outERKN3c106ScalarES6_S6_RNS1_6TensorEENKUlvE_clEvENKUlvE_clEvEUllE_EEvT_T0_PN15function_traitsISD_E11result_typeE, .Lfunc_end46-_ZN12_GLOBAL__N_141elementwise_kernel_with_index_grid_strideIiZZZN2at6native14range_cuda_outERKN3c106ScalarES6_S6_RNS1_6TensorEENKUlvE_clEvENKUlvE_clEvEUllE_EEvT_T0_PN15function_traitsISD_E11result_typeE
                                        ; -- End function
	.set _ZN12_GLOBAL__N_141elementwise_kernel_with_index_grid_strideIiZZZN2at6native14range_cuda_outERKN3c106ScalarES6_S6_RNS1_6TensorEENKUlvE_clEvENKUlvE_clEvEUllE_EEvT_T0_PN15function_traitsISD_E11result_typeE.num_vgpr, 20
	.set _ZN12_GLOBAL__N_141elementwise_kernel_with_index_grid_strideIiZZZN2at6native14range_cuda_outERKN3c106ScalarES6_S6_RNS1_6TensorEENKUlvE_clEvENKUlvE_clEvEUllE_EEvT_T0_PN15function_traitsISD_E11result_typeE.num_agpr, 0
	.set _ZN12_GLOBAL__N_141elementwise_kernel_with_index_grid_strideIiZZZN2at6native14range_cuda_outERKN3c106ScalarES6_S6_RNS1_6TensorEENKUlvE_clEvENKUlvE_clEvEUllE_EEvT_T0_PN15function_traitsISD_E11result_typeE.numbered_sgpr, 29
	.set _ZN12_GLOBAL__N_141elementwise_kernel_with_index_grid_strideIiZZZN2at6native14range_cuda_outERKN3c106ScalarES6_S6_RNS1_6TensorEENKUlvE_clEvENKUlvE_clEvEUllE_EEvT_T0_PN15function_traitsISD_E11result_typeE.num_named_barrier, 0
	.set _ZN12_GLOBAL__N_141elementwise_kernel_with_index_grid_strideIiZZZN2at6native14range_cuda_outERKN3c106ScalarES6_S6_RNS1_6TensorEENKUlvE_clEvENKUlvE_clEvEUllE_EEvT_T0_PN15function_traitsISD_E11result_typeE.private_seg_size, 0
	.set _ZN12_GLOBAL__N_141elementwise_kernel_with_index_grid_strideIiZZZN2at6native14range_cuda_outERKN3c106ScalarES6_S6_RNS1_6TensorEENKUlvE_clEvENKUlvE_clEvEUllE_EEvT_T0_PN15function_traitsISD_E11result_typeE.uses_vcc, 1
	.set _ZN12_GLOBAL__N_141elementwise_kernel_with_index_grid_strideIiZZZN2at6native14range_cuda_outERKN3c106ScalarES6_S6_RNS1_6TensorEENKUlvE_clEvENKUlvE_clEvEUllE_EEvT_T0_PN15function_traitsISD_E11result_typeE.uses_flat_scratch, 0
	.set _ZN12_GLOBAL__N_141elementwise_kernel_with_index_grid_strideIiZZZN2at6native14range_cuda_outERKN3c106ScalarES6_S6_RNS1_6TensorEENKUlvE_clEvENKUlvE_clEvEUllE_EEvT_T0_PN15function_traitsISD_E11result_typeE.has_dyn_sized_stack, 0
	.set _ZN12_GLOBAL__N_141elementwise_kernel_with_index_grid_strideIiZZZN2at6native14range_cuda_outERKN3c106ScalarES6_S6_RNS1_6TensorEENKUlvE_clEvENKUlvE_clEvEUllE_EEvT_T0_PN15function_traitsISD_E11result_typeE.has_recursion, 0
	.set _ZN12_GLOBAL__N_141elementwise_kernel_with_index_grid_strideIiZZZN2at6native14range_cuda_outERKN3c106ScalarES6_S6_RNS1_6TensorEENKUlvE_clEvENKUlvE_clEvEUllE_EEvT_T0_PN15function_traitsISD_E11result_typeE.has_indirect_call, 0
	.section	.AMDGPU.csdata,"",@progbits
; Kernel info:
; codeLenInByte = 844
; TotalNumSgprs: 31
; NumVgprs: 20
; ScratchSize: 0
; MemoryBound: 0
; FloatMode: 240
; IeeeMode: 1
; LDSByteSize: 0 bytes/workgroup (compile time only)
; SGPRBlocks: 0
; VGPRBlocks: 2
; NumSGPRsForWavesPerEU: 31
; NumVGPRsForWavesPerEU: 20
; Occupancy: 16
; WaveLimiterHint : 0
; COMPUTE_PGM_RSRC2:SCRATCH_EN: 0
; COMPUTE_PGM_RSRC2:USER_SGPR: 6
; COMPUTE_PGM_RSRC2:TRAP_HANDLER: 0
; COMPUTE_PGM_RSRC2:TGID_X_EN: 1
; COMPUTE_PGM_RSRC2:TGID_Y_EN: 0
; COMPUTE_PGM_RSRC2:TGID_Z_EN: 0
; COMPUTE_PGM_RSRC2:TIDIG_COMP_CNT: 0
	.section	.text._ZN12_GLOBAL__N_141elementwise_kernel_with_index_grid_strideIlZZZN2at6native14range_cuda_outERKN3c106ScalarES6_S6_RNS1_6TensorEENKUlvE_clEvENKUlvE_clEvEUllE_EEvT_T0_PN15function_traitsISD_E11result_typeE,"axG",@progbits,_ZN12_GLOBAL__N_141elementwise_kernel_with_index_grid_strideIlZZZN2at6native14range_cuda_outERKN3c106ScalarES6_S6_RNS1_6TensorEENKUlvE_clEvENKUlvE_clEvEUllE_EEvT_T0_PN15function_traitsISD_E11result_typeE,comdat
	.globl	_ZN12_GLOBAL__N_141elementwise_kernel_with_index_grid_strideIlZZZN2at6native14range_cuda_outERKN3c106ScalarES6_S6_RNS1_6TensorEENKUlvE_clEvENKUlvE_clEvEUllE_EEvT_T0_PN15function_traitsISD_E11result_typeE ; -- Begin function _ZN12_GLOBAL__N_141elementwise_kernel_with_index_grid_strideIlZZZN2at6native14range_cuda_outERKN3c106ScalarES6_S6_RNS1_6TensorEENKUlvE_clEvENKUlvE_clEvEUllE_EEvT_T0_PN15function_traitsISD_E11result_typeE
	.p2align	8
	.type	_ZN12_GLOBAL__N_141elementwise_kernel_with_index_grid_strideIlZZZN2at6native14range_cuda_outERKN3c106ScalarES6_S6_RNS1_6TensorEENKUlvE_clEvENKUlvE_clEvEUllE_EEvT_T0_PN15function_traitsISD_E11result_typeE,@function
_ZN12_GLOBAL__N_141elementwise_kernel_with_index_grid_strideIlZZZN2at6native14range_cuda_outERKN3c106ScalarES6_S6_RNS1_6TensorEENKUlvE_clEvENKUlvE_clEvEUllE_EEvT_T0_PN15function_traitsISD_E11result_typeE: ; @_ZN12_GLOBAL__N_141elementwise_kernel_with_index_grid_strideIlZZZN2at6native14range_cuda_outERKN3c106ScalarES6_S6_RNS1_6TensorEENKUlvE_clEvENKUlvE_clEvEUllE_EEvT_T0_PN15function_traitsISD_E11result_typeE
; %bb.0:
	s_clause 0x1
	s_load_dword s2, s[4:5], 0x2c
	s_load_dwordx8 s[8:15], s[4:5], 0x0
	s_add_u32 s0, s4, 32
	s_addc_u32 s1, s5, 0
	v_mov_b32_e32 v3, 0
	s_waitcnt lgkmcnt(0)
	s_and_b32 s7, s2, 0xffff
	s_mul_i32 s25, s7, s6
	s_mul_hi_u32 s24, s7, s6
	v_add_co_u32 v1, s2, s25, v0
	v_add_co_ci_u32_e64 v2, null, s24, 0, s2
	s_mov_b32 s2, exec_lo
	v_cmpx_gt_i64_e64 s[8:9], v[1:2]
	s_cbranch_execz .LBB47_12
; %bb.1:
	s_load_dword s4, s[0:1], 0x0
	s_mov_b32 s5, 0
	s_waitcnt lgkmcnt(0)
	s_add_u32 s0, s6, s4
	s_addc_u32 s1, 0, 0
	s_mul_hi_u32 s2, s0, s7
	s_mul_i32 s1, s1, s7
	s_mul_i32 s26, s0, s7
	s_add_i32 s27, s2, s1
	v_add_co_u32 v6, s0, s26, v0
	v_add_co_ci_u32_e64 v7, null, s27, 0, s0
	s_mul_hi_u32 s3, s7, s4
	s_mul_i32 s2, s7, s4
	v_cmp_gt_i64_e32 vcc_lo, s[8:9], v[6:7]
	v_cndmask_b32_e64 v5, 0, 1, vcc_lo
	v_cndmask_b32_e64 v4, v7, s9, vcc_lo
	;; [unrolled: 1-line block ×3, first 2 shown]
	v_add_co_u32 v6, vcc_lo, v6, v5
	v_add_co_ci_u32_e64 v7, null, 0, v7, vcc_lo
	v_sub_co_u32 v6, vcc_lo, v8, v6
	v_sub_co_ci_u32_e64 v7, null, v4, v7, vcc_lo
	v_or_b32_e32 v4, s3, v7
	v_cmp_ne_u64_e32 vcc_lo, 0, v[3:4]
                                        ; implicit-def: $vgpr3_vgpr4
	s_and_saveexec_b32 s0, vcc_lo
	s_xor_b32 s1, exec_lo, s0
	s_cbranch_execz .LBB47_3
; %bb.2:
	v_cvt_f32_u32_e32 v3, s2
	v_cvt_f32_u32_e32 v4, s3
	s_sub_u32 s17, 0, s2
	s_subb_u32 s18, 0, s3
	v_fmamk_f32 v3, v4, 0x4f800000, v3
	v_rcp_f32_e32 v3, v3
	v_mul_f32_e32 v3, 0x5f7ffffc, v3
	v_mul_f32_e32 v4, 0x2f800000, v3
	v_trunc_f32_e32 v4, v4
	v_fmamk_f32 v3, v4, 0xcf800000, v3
	v_cvt_u32_f32_e32 v4, v4
	v_cvt_u32_f32_e32 v3, v3
	v_readfirstlane_b32 s0, v4
	v_readfirstlane_b32 s16, v3
	s_mul_i32 s19, s17, s0
	s_mul_hi_u32 s21, s17, s16
	s_mul_i32 s20, s18, s16
	s_add_i32 s19, s21, s19
	s_mul_i32 s22, s17, s16
	s_add_i32 s19, s19, s20
	s_mul_hi_u32 s21, s16, s22
	s_mul_i32 s28, s16, s19
	s_mul_hi_u32 s23, s0, s22
	s_mul_i32 s20, s0, s22
	s_mul_hi_u32 s22, s16, s19
	s_add_u32 s21, s21, s28
	s_addc_u32 s22, 0, s22
	s_mul_hi_u32 s29, s0, s19
	s_add_u32 s20, s21, s20
	s_mul_i32 s19, s0, s19
	s_addc_u32 s20, s22, s23
	s_addc_u32 s21, s29, 0
	s_add_u32 s19, s20, s19
	s_addc_u32 s20, 0, s21
	s_add_u32 s16, s16, s19
	s_cselect_b32 s19, -1, 0
	s_mul_hi_u32 s21, s17, s16
	s_cmp_lg_u32 s19, 0
	s_mul_i32 s19, s17, s16
	s_addc_u32 s0, s0, s20
	s_mul_i32 s18, s18, s16
	s_mul_i32 s17, s17, s0
	s_mul_hi_u32 s20, s16, s19
	s_add_i32 s17, s21, s17
	s_mul_hi_u32 s21, s0, s19
	s_add_i32 s17, s17, s18
	s_mul_i32 s18, s0, s19
	s_mul_i32 s23, s16, s17
	s_mul_hi_u32 s22, s16, s17
	s_add_u32 s20, s20, s23
	s_addc_u32 s22, 0, s22
	s_mul_hi_u32 s19, s0, s17
	s_add_u32 s18, s20, s18
	s_mul_i32 s17, s0, s17
	s_addc_u32 s18, s22, s21
	s_addc_u32 s19, s19, 0
	s_add_u32 s17, s18, s17
	s_addc_u32 s18, 0, s19
	s_add_u32 s16, s16, s17
	s_cselect_b32 s17, -1, 0
	v_mul_hi_u32 v12, v6, s16
	s_cmp_lg_u32 s17, 0
	v_mad_u64_u32 v[8:9], null, v7, s16, 0
	s_addc_u32 s0, s0, s18
	v_mad_u64_u32 v[3:4], null, v6, s0, 0
	v_mad_u64_u32 v[10:11], null, v7, s0, 0
	v_add_co_u32 v3, vcc_lo, v12, v3
	v_add_co_ci_u32_e64 v4, null, 0, v4, vcc_lo
	v_add_co_u32 v3, vcc_lo, v3, v8
	v_add_co_ci_u32_e32 v3, vcc_lo, v4, v9, vcc_lo
	v_add_co_ci_u32_e32 v4, vcc_lo, 0, v11, vcc_lo
	v_add_co_u32 v8, vcc_lo, v3, v10
	v_add_co_ci_u32_e64 v9, null, 0, v4, vcc_lo
	v_mul_lo_u32 v10, s3, v8
	v_mad_u64_u32 v[3:4], null, s2, v8, 0
	v_mul_lo_u32 v11, s2, v9
	v_sub_co_u32 v3, vcc_lo, v6, v3
	v_add3_u32 v4, v4, v11, v10
	v_sub_nc_u32_e32 v10, v7, v4
	v_sub_co_ci_u32_e64 v4, null, v7, v4, vcc_lo
	v_subrev_co_ci_u32_e64 v6, null, s3, v10, vcc_lo
	v_add_co_u32 v10, s0, v8, 2
	v_add_co_ci_u32_e64 v11, null, 0, v9, s0
	v_sub_co_u32 v12, s0, v3, s2
	v_subrev_co_ci_u32_e64 v6, null, 0, v6, s0
	v_cmp_eq_u32_e64 s0, s3, v4
	v_cmp_le_u32_e32 vcc_lo, s2, v12
	v_cndmask_b32_e64 v7, 0, -1, vcc_lo
	v_cmp_le_u32_e32 vcc_lo, s3, v6
	v_cndmask_b32_e64 v12, 0, -1, vcc_lo
	v_cmp_le_u32_e32 vcc_lo, s2, v3
	v_cndmask_b32_e64 v3, 0, -1, vcc_lo
	v_cmp_le_u32_e32 vcc_lo, s3, v4
	v_cndmask_b32_e64 v13, 0, -1, vcc_lo
	v_cmp_eq_u32_e32 vcc_lo, s3, v6
	v_cndmask_b32_e64 v3, v13, v3, s0
	v_cndmask_b32_e32 v6, v12, v7, vcc_lo
	v_add_co_u32 v7, vcc_lo, v8, 1
	v_add_co_ci_u32_e64 v12, null, 0, v9, vcc_lo
	v_cmp_ne_u32_e32 vcc_lo, 0, v6
	v_cndmask_b32_e32 v4, v12, v11, vcc_lo
	v_cndmask_b32_e32 v6, v7, v10, vcc_lo
	v_cmp_ne_u32_e32 vcc_lo, 0, v3
	v_cndmask_b32_e32 v4, v9, v4, vcc_lo
	v_cndmask_b32_e32 v3, v8, v6, vcc_lo
                                        ; implicit-def: $vgpr6
.LBB47_3:
	s_andn2_saveexec_b32 s0, s1
	s_cbranch_execz .LBB47_5
; %bb.4:
	v_cvt_f32_u32_e32 v3, s2
	s_sub_i32 s1, 0, s2
	v_rcp_iflag_f32_e32 v3, v3
	v_mul_f32_e32 v3, 0x4f7ffffe, v3
	v_cvt_u32_f32_e32 v3, v3
	v_mul_lo_u32 v4, s1, v3
	v_mul_hi_u32 v4, v3, v4
	v_add_nc_u32_e32 v3, v3, v4
	v_mul_hi_u32 v3, v6, v3
	v_mul_lo_u32 v4, v3, s2
	v_sub_nc_u32_e32 v4, v6, v4
	v_add_nc_u32_e32 v6, 1, v3
	v_subrev_nc_u32_e32 v7, s2, v4
	v_cmp_le_u32_e32 vcc_lo, s2, v4
	v_cndmask_b32_e32 v4, v4, v7, vcc_lo
	v_cndmask_b32_e32 v3, v3, v6, vcc_lo
	v_cmp_le_u32_e32 vcc_lo, s2, v4
	v_add_nc_u32_e32 v6, 1, v3
	v_mov_b32_e32 v4, 0
	v_cndmask_b32_e32 v3, v3, v6, vcc_lo
.LBB47_5:
	s_or_b32 exec_lo, exec_lo, s0
	v_add_co_u32 v3, vcc_lo, v3, v5
	v_add_co_ci_u32_e64 v4, null, 0, v4, vcc_lo
	s_mov_b32 s0, -1
	v_add_co_u32 v11, vcc_lo, v3, 1
	v_add_co_ci_u32_e64 v12, null, 0, v4, vcc_lo
	s_mov_b32 s28, exec_lo
	v_cmpx_lt_u64_e32 3, v[11:12]
	s_cbranch_execz .LBB47_9
; %bb.6:
	v_mad_u64_u32 v[7:8], null, s2, 3, v[1:2]
	s_mul_i32 s38, s4, 3
	v_mad_u64_u32 v[5:6], null, s2, 2, v[1:2]
	v_mad_u64_u32 v[3:4], null, s2, 1, v[1:2]
	s_lshl_b64 s[22:23], s[2:3], 2
	s_mul_hi_u32 s39, s4, 3
	v_mad_u64_u32 v[8:9], null, s3, 3, v[8:9]
	s_add_u32 s41, s38, s6
	s_addc_u32 s39, s39, 0
	v_mov_b32_e32 v14, v12
	s_mul_i32 s40, s39, s7
	s_mul_hi_u32 s42, s41, s7
	v_and_b32_e32 v13, -4, v11
	s_add_i32 s40, s42, s40
	s_lshl_b64 s[42:43], s[4:5], 1
	v_lshl_add_u32 v6, s3, 1, v6
	v_add_nc_u32_e32 v4, s3, v4
	s_mul_i32 s5, s41, s7
	s_add_u32 s41, s42, s6
	v_add_co_u32 v0, s42, s14, v0
	s_addc_u32 s6, s43, 0
	v_mov_b32_e32 v16, v14
	v_mov_b32_e32 v10, v8
	v_add_co_ci_u32_e64 v17, null, s15, 0, s42
	v_mov_b32_e32 v15, v13
	v_mov_b32_e32 v9, v7
	;; [unrolled: 1-line block ×8, first 2 shown]
	s_mul_i32 s6, s6, s7
	s_mul_hi_u32 s42, s41, s7
	s_mov_b32 s29, s12
	s_mov_b32 s30, s12
	;; [unrolled: 1-line block ×18, first 2 shown]
	s_add_i32 s6, s42, s6
	s_mul_i32 s42, s41, s7
	s_mov_b32 s41, 0
.LBB47_7:                               ; =>This Inner Loop Header: Depth=1
	v_mad_u64_u32 v[18:19], null, v3, s29, s[0:1]
	v_mad_u64_u32 v[19:20], null, v5, s30, s[16:17]
	;; [unrolled: 1-line block ×4, first 2 shown]
	v_add_co_u32 v22, vcc_lo, v0, s25
	v_add_co_ci_u32_e64 v23, null, s24, v17, vcc_lo
	v_add_co_u32 v24, vcc_lo, v0, s26
	v_add_co_ci_u32_e64 v25, null, s27, v17, vcc_lo
	;; [unrolled: 2-line block ×6, first 2 shown]
	v_add_co_u32 v5, vcc_lo, v5, s34
	v_lshlrev_b16 v19, 8, v19
	v_add_co_ci_u32_e64 v6, null, s35, v6, vcc_lo
	v_add_co_u32 v3, vcc_lo, v3, s22
	v_add_co_ci_u32_e64 v4, null, s23, v4, vcc_lo
	v_add_co_u32 v15, vcc_lo, v15, -4
	v_or_b32_sdwa v18, v18, v19 dst_sel:DWORD dst_unused:UNUSED_PAD src0_sel:BYTE_0 src1_sel:DWORD
	v_add_co_ci_u32_e64 v16, null, -1, v16, vcc_lo
	v_lshlrev_b16 v21, 8, v21
	v_add_co_u32 v0, vcc_lo, v0, s22
	v_and_b32_e32 v18, 0xffff, v18
	v_add_co_ci_u32_e64 v17, null, s23, v17, vcc_lo
	v_cmp_eq_u64_e32 vcc_lo, 0, v[15:16]
	v_or_b32_sdwa v19, v20, v21 dst_sel:DWORD dst_unused:UNUSED_PAD src0_sel:BYTE_0 src1_sel:DWORD
	v_lshrrev_b32_e32 v21, 8, v18
	v_lshrrev_b32_e32 v20, 8, v19
	s_or_b32 s41, vcc_lo, s41
	global_store_byte v[22:23], v18, off
	global_store_byte v[24:25], v21, off
	;; [unrolled: 1-line block ×4, first 2 shown]
	s_andn2_b32 exec_lo, exec_lo, s41
	s_cbranch_execnz .LBB47_7
; %bb.8:
	s_or_b32 exec_lo, exec_lo, s41
	v_mad_u64_u32 v[1:2], null, v13, s2, v[1:2]
	v_mul_lo_u32 v0, v13, s3
	v_mul_lo_u32 v3, v14, s2
	v_cmp_ne_u64_e32 vcc_lo, v[11:12], v[13:14]
	s_orn2_b32 s0, vcc_lo, exec_lo
	v_add3_u32 v2, v3, v2, v0
.LBB47_9:
	s_or_b32 exec_lo, exec_lo, s28
	s_and_b32 exec_lo, exec_lo, s0
	s_cbranch_execz .LBB47_12
; %bb.10:
	v_mad_u64_u32 v[3:4], null, v1, s12, s[10:11]
	v_mul_lo_u32 v0, v1, s13
	v_mul_lo_u32 v5, v2, s12
	s_mul_i32 s0, s13, s7
	s_mul_hi_u32 s1, s12, s7
	s_mul_i32 s5, s12, s7
	s_add_i32 s0, s1, s0
	s_mul_hi_u32 s1, s5, s4
	s_mul_i32 s0, s0, s4
	s_mul_i32 s4, s5, s4
	v_add3_u32 v4, v5, v4, v0
	s_add_i32 s1, s1, s0
	s_mov_b32 s5, 0
	.p2align	6
.LBB47_11:                              ; =>This Inner Loop Header: Depth=1
	v_add_co_u32 v5, vcc_lo, s14, v1
	v_add_co_ci_u32_e64 v6, null, s15, v2, vcc_lo
	v_add_co_u32 v1, vcc_lo, v1, s2
	v_add_co_ci_u32_e64 v2, null, s3, v2, vcc_lo
	global_store_byte v[5:6], v3, off
	v_add_co_u32 v3, s0, v3, s4
	v_cmp_le_i64_e32 vcc_lo, s[8:9], v[1:2]
	v_add_co_ci_u32_e64 v4, null, s1, v4, s0
	s_or_b32 s5, vcc_lo, s5
	s_andn2_b32 exec_lo, exec_lo, s5
	s_cbranch_execnz .LBB47_11
.LBB47_12:
	s_endpgm
	.section	.rodata,"a",@progbits
	.p2align	6, 0x0
	.amdhsa_kernel _ZN12_GLOBAL__N_141elementwise_kernel_with_index_grid_strideIlZZZN2at6native14range_cuda_outERKN3c106ScalarES6_S6_RNS1_6TensorEENKUlvE_clEvENKUlvE_clEvEUllE_EEvT_T0_PN15function_traitsISD_E11result_typeE
		.amdhsa_group_segment_fixed_size 0
		.amdhsa_private_segment_fixed_size 0
		.amdhsa_kernarg_size 288
		.amdhsa_user_sgpr_count 6
		.amdhsa_user_sgpr_private_segment_buffer 1
		.amdhsa_user_sgpr_dispatch_ptr 0
		.amdhsa_user_sgpr_queue_ptr 0
		.amdhsa_user_sgpr_kernarg_segment_ptr 1
		.amdhsa_user_sgpr_dispatch_id 0
		.amdhsa_user_sgpr_flat_scratch_init 0
		.amdhsa_user_sgpr_private_segment_size 0
		.amdhsa_wavefront_size32 1
		.amdhsa_uses_dynamic_stack 0
		.amdhsa_system_sgpr_private_segment_wavefront_offset 0
		.amdhsa_system_sgpr_workgroup_id_x 1
		.amdhsa_system_sgpr_workgroup_id_y 0
		.amdhsa_system_sgpr_workgroup_id_z 0
		.amdhsa_system_sgpr_workgroup_info 0
		.amdhsa_system_vgpr_workitem_id 0
		.amdhsa_next_free_vgpr 30
		.amdhsa_next_free_sgpr 44
		.amdhsa_reserve_vcc 1
		.amdhsa_reserve_flat_scratch 0
		.amdhsa_float_round_mode_32 0
		.amdhsa_float_round_mode_16_64 0
		.amdhsa_float_denorm_mode_32 3
		.amdhsa_float_denorm_mode_16_64 3
		.amdhsa_dx10_clamp 1
		.amdhsa_ieee_mode 1
		.amdhsa_fp16_overflow 0
		.amdhsa_workgroup_processor_mode 1
		.amdhsa_memory_ordered 1
		.amdhsa_forward_progress 1
		.amdhsa_shared_vgpr_count 0
		.amdhsa_exception_fp_ieee_invalid_op 0
		.amdhsa_exception_fp_denorm_src 0
		.amdhsa_exception_fp_ieee_div_zero 0
		.amdhsa_exception_fp_ieee_overflow 0
		.amdhsa_exception_fp_ieee_underflow 0
		.amdhsa_exception_fp_ieee_inexact 0
		.amdhsa_exception_int_div_zero 0
	.end_amdhsa_kernel
	.section	.text._ZN12_GLOBAL__N_141elementwise_kernel_with_index_grid_strideIlZZZN2at6native14range_cuda_outERKN3c106ScalarES6_S6_RNS1_6TensorEENKUlvE_clEvENKUlvE_clEvEUllE_EEvT_T0_PN15function_traitsISD_E11result_typeE,"axG",@progbits,_ZN12_GLOBAL__N_141elementwise_kernel_with_index_grid_strideIlZZZN2at6native14range_cuda_outERKN3c106ScalarES6_S6_RNS1_6TensorEENKUlvE_clEvENKUlvE_clEvEUllE_EEvT_T0_PN15function_traitsISD_E11result_typeE,comdat
.Lfunc_end47:
	.size	_ZN12_GLOBAL__N_141elementwise_kernel_with_index_grid_strideIlZZZN2at6native14range_cuda_outERKN3c106ScalarES6_S6_RNS1_6TensorEENKUlvE_clEvENKUlvE_clEvEUllE_EEvT_T0_PN15function_traitsISD_E11result_typeE, .Lfunc_end47-_ZN12_GLOBAL__N_141elementwise_kernel_with_index_grid_strideIlZZZN2at6native14range_cuda_outERKN3c106ScalarES6_S6_RNS1_6TensorEENKUlvE_clEvENKUlvE_clEvEUllE_EEvT_T0_PN15function_traitsISD_E11result_typeE
                                        ; -- End function
	.set _ZN12_GLOBAL__N_141elementwise_kernel_with_index_grid_strideIlZZZN2at6native14range_cuda_outERKN3c106ScalarES6_S6_RNS1_6TensorEENKUlvE_clEvENKUlvE_clEvEUllE_EEvT_T0_PN15function_traitsISD_E11result_typeE.num_vgpr, 30
	.set _ZN12_GLOBAL__N_141elementwise_kernel_with_index_grid_strideIlZZZN2at6native14range_cuda_outERKN3c106ScalarES6_S6_RNS1_6TensorEENKUlvE_clEvENKUlvE_clEvEUllE_EEvT_T0_PN15function_traitsISD_E11result_typeE.num_agpr, 0
	.set _ZN12_GLOBAL__N_141elementwise_kernel_with_index_grid_strideIlZZZN2at6native14range_cuda_outERKN3c106ScalarES6_S6_RNS1_6TensorEENKUlvE_clEvENKUlvE_clEvEUllE_EEvT_T0_PN15function_traitsISD_E11result_typeE.numbered_sgpr, 44
	.set _ZN12_GLOBAL__N_141elementwise_kernel_with_index_grid_strideIlZZZN2at6native14range_cuda_outERKN3c106ScalarES6_S6_RNS1_6TensorEENKUlvE_clEvENKUlvE_clEvEUllE_EEvT_T0_PN15function_traitsISD_E11result_typeE.num_named_barrier, 0
	.set _ZN12_GLOBAL__N_141elementwise_kernel_with_index_grid_strideIlZZZN2at6native14range_cuda_outERKN3c106ScalarES6_S6_RNS1_6TensorEENKUlvE_clEvENKUlvE_clEvEUllE_EEvT_T0_PN15function_traitsISD_E11result_typeE.private_seg_size, 0
	.set _ZN12_GLOBAL__N_141elementwise_kernel_with_index_grid_strideIlZZZN2at6native14range_cuda_outERKN3c106ScalarES6_S6_RNS1_6TensorEENKUlvE_clEvENKUlvE_clEvEUllE_EEvT_T0_PN15function_traitsISD_E11result_typeE.uses_vcc, 1
	.set _ZN12_GLOBAL__N_141elementwise_kernel_with_index_grid_strideIlZZZN2at6native14range_cuda_outERKN3c106ScalarES6_S6_RNS1_6TensorEENKUlvE_clEvENKUlvE_clEvEUllE_EEvT_T0_PN15function_traitsISD_E11result_typeE.uses_flat_scratch, 0
	.set _ZN12_GLOBAL__N_141elementwise_kernel_with_index_grid_strideIlZZZN2at6native14range_cuda_outERKN3c106ScalarES6_S6_RNS1_6TensorEENKUlvE_clEvENKUlvE_clEvEUllE_EEvT_T0_PN15function_traitsISD_E11result_typeE.has_dyn_sized_stack, 0
	.set _ZN12_GLOBAL__N_141elementwise_kernel_with_index_grid_strideIlZZZN2at6native14range_cuda_outERKN3c106ScalarES6_S6_RNS1_6TensorEENKUlvE_clEvENKUlvE_clEvEUllE_EEvT_T0_PN15function_traitsISD_E11result_typeE.has_recursion, 0
	.set _ZN12_GLOBAL__N_141elementwise_kernel_with_index_grid_strideIlZZZN2at6native14range_cuda_outERKN3c106ScalarES6_S6_RNS1_6TensorEENKUlvE_clEvENKUlvE_clEvEUllE_EEvT_T0_PN15function_traitsISD_E11result_typeE.has_indirect_call, 0
	.section	.AMDGPU.csdata,"",@progbits
; Kernel info:
; codeLenInByte = 1676
; TotalNumSgprs: 46
; NumVgprs: 30
; ScratchSize: 0
; MemoryBound: 0
; FloatMode: 240
; IeeeMode: 1
; LDSByteSize: 0 bytes/workgroup (compile time only)
; SGPRBlocks: 0
; VGPRBlocks: 3
; NumSGPRsForWavesPerEU: 46
; NumVGPRsForWavesPerEU: 30
; Occupancy: 16
; WaveLimiterHint : 0
; COMPUTE_PGM_RSRC2:SCRATCH_EN: 0
; COMPUTE_PGM_RSRC2:USER_SGPR: 6
; COMPUTE_PGM_RSRC2:TRAP_HANDLER: 0
; COMPUTE_PGM_RSRC2:TGID_X_EN: 1
; COMPUTE_PGM_RSRC2:TGID_Y_EN: 0
; COMPUTE_PGM_RSRC2:TGID_Z_EN: 0
; COMPUTE_PGM_RSRC2:TIDIG_COMP_CNT: 0
	.section	.text._ZN12_GLOBAL__N_141elementwise_kernel_with_index_grid_strideIiZZZN2at6native14range_cuda_outERKN3c106ScalarES6_S6_RNS1_6TensorEENKUlvE_clEvENKUlvE0_clEvEUllE_EEvT_T0_PN15function_traitsISD_E11result_typeE,"axG",@progbits,_ZN12_GLOBAL__N_141elementwise_kernel_with_index_grid_strideIiZZZN2at6native14range_cuda_outERKN3c106ScalarES6_S6_RNS1_6TensorEENKUlvE_clEvENKUlvE0_clEvEUllE_EEvT_T0_PN15function_traitsISD_E11result_typeE,comdat
	.globl	_ZN12_GLOBAL__N_141elementwise_kernel_with_index_grid_strideIiZZZN2at6native14range_cuda_outERKN3c106ScalarES6_S6_RNS1_6TensorEENKUlvE_clEvENKUlvE0_clEvEUllE_EEvT_T0_PN15function_traitsISD_E11result_typeE ; -- Begin function _ZN12_GLOBAL__N_141elementwise_kernel_with_index_grid_strideIiZZZN2at6native14range_cuda_outERKN3c106ScalarES6_S6_RNS1_6TensorEENKUlvE_clEvENKUlvE0_clEvEUllE_EEvT_T0_PN15function_traitsISD_E11result_typeE
	.p2align	8
	.type	_ZN12_GLOBAL__N_141elementwise_kernel_with_index_grid_strideIiZZZN2at6native14range_cuda_outERKN3c106ScalarES6_S6_RNS1_6TensorEENKUlvE_clEvENKUlvE0_clEvEUllE_EEvT_T0_PN15function_traitsISD_E11result_typeE,@function
_ZN12_GLOBAL__N_141elementwise_kernel_with_index_grid_strideIiZZZN2at6native14range_cuda_outERKN3c106ScalarES6_S6_RNS1_6TensorEENKUlvE_clEvENKUlvE0_clEvEUllE_EEvT_T0_PN15function_traitsISD_E11result_typeE: ; @_ZN12_GLOBAL__N_141elementwise_kernel_with_index_grid_strideIiZZZN2at6native14range_cuda_outERKN3c106ScalarES6_S6_RNS1_6TensorEENKUlvE_clEvENKUlvE0_clEvEUllE_EEvT_T0_PN15function_traitsISD_E11result_typeE
; %bb.0:
	s_clause 0x1
	s_load_dword s2, s[4:5], 0x2c
	s_load_dword s3, s[4:5], 0x0
	s_add_u32 s0, s4, 32
	s_addc_u32 s1, s5, 0
	s_mov_b32 s7, exec_lo
	s_waitcnt lgkmcnt(0)
	s_and_b32 s2, s2, 0xffff
	v_mad_u64_u32 v[1:2], null, s6, s2, v[0:1]
	v_cmpx_gt_i32_e64 s3, v1
	s_cbranch_execz .LBB48_8
; %bb.1:
	s_load_dword s0, s[0:1], 0x0
	s_clause 0x1
	s_load_dwordx4 s[8:11], s[4:5], 0x8
	s_load_dwordx2 s[4:5], s[4:5], 0x18
	s_mov_b32 s20, 0
	s_mov_b32 s19, exec_lo
	s_waitcnt lgkmcnt(0)
	s_mul_i32 s18, s0, s2
	s_add_i32 s0, s6, s0
	v_cvt_f32_u32_e32 v2, s18
	s_sub_i32 s1, 0, s18
	s_mul_i32 s0, s0, s2
	v_add_nc_u32_e32 v4, s0, v0
	v_rcp_iflag_f32_e32 v2, v2
	v_cmp_gt_i32_e32 vcc_lo, s3, v4
	v_max_i32_e32 v5, s3, v4
	v_add_co_ci_u32_e64 v0, null, s0, v0, vcc_lo
	v_mul_f32_e32 v2, 0x4f7ffffe, v2
	v_sub_nc_u32_e32 v0, v5, v0
	v_cvt_u32_f32_e32 v2, v2
	v_mul_lo_u32 v3, s1, v2
	v_mul_hi_u32 v3, v2, v3
	v_add_nc_u32_e32 v2, v2, v3
	v_mul_hi_u32 v2, v0, v2
	v_mul_lo_u32 v3, v2, s18
	v_sub_nc_u32_e32 v0, v0, v3
	v_add_nc_u32_e32 v3, 1, v2
	v_subrev_nc_u32_e32 v4, s18, v0
	v_cmp_le_u32_e64 s0, s18, v0
	v_cndmask_b32_e64 v2, v2, v3, s0
	v_cndmask_b32_e64 v0, v0, v4, s0
	v_add_nc_u32_e32 v3, 1, v2
	v_cmp_le_u32_e64 s0, s18, v0
	v_cndmask_b32_e64 v0, v2, v3, s0
	s_mov_b32 s0, -1
	v_add_co_ci_u32_e64 v0, null, 1, v0, vcc_lo
	v_cmpx_lt_u32_e32 3, v0
	s_cbranch_execz .LBB48_5
; %bb.2:
	v_add_nc_u32_e32 v2, s18, v1
	v_and_b32_e32 v6, -4, v0
	v_lshl_add_u32 v3, s18, 1, v1
	s_lshl_b32 s25, s18, 2
	s_mov_b32 s21, s10
	v_mad_u64_u32 v[4:5], null, s18, 3, v[1:2]
	v_mov_b32_e32 v7, v6
	s_mov_b32 s22, s10
	s_mov_b32 s23, s10
	;; [unrolled: 1-line block ×5, first 2 shown]
	v_mov_b32_e32 v5, v4
	v_mov_b32_e32 v4, v3
	;; [unrolled: 1-line block ×4, first 2 shown]
	s_mov_b32 s12, s8
	s_mov_b32 s13, s9
	;; [unrolled: 1-line block ×9, first 2 shown]
.LBB48_3:                               ; =>This Inner Loop Header: Depth=1
	v_mad_u64_u32 v[8:9], null, s21, v2, s[6:7]
	v_mad_u64_u32 v[9:10], null, s22, v3, s[12:13]
	v_mad_u64_u32 v[10:11], null, s23, v4, s[14:15]
	v_mad_u64_u32 v[11:12], null, s24, v5, s[16:17]
	v_ashrrev_i32_e32 v13, 31, v2
	v_add_nc_u32_e32 v7, -4, v7
	v_lshlrev_b16 v9, 8, v9
	v_ashrrev_i32_e32 v15, 31, v3
	v_add_co_u32 v12, vcc_lo, s4, v2
	v_lshlrev_b16 v11, 8, v11
	v_or_b32_sdwa v8, v8, v9 dst_sel:DWORD dst_unused:UNUSED_PAD src0_sel:BYTE_0 src1_sel:DWORD
	v_ashrrev_i32_e32 v17, 31, v4
	v_ashrrev_i32_e32 v19, 31, v5
	v_add_co_ci_u32_e64 v13, null, s5, v13, vcc_lo
	v_and_b32_e32 v8, 0xffff, v8
	v_or_b32_sdwa v9, v10, v11 dst_sel:DWORD dst_unused:UNUSED_PAD src0_sel:BYTE_0 src1_sel:DWORD
	v_cmp_eq_u32_e32 vcc_lo, 0, v7
	v_add_co_u32 v14, s0, s4, v3
	v_add_co_u32 v16, s1, s4, v4
	;; [unrolled: 1-line block ×3, first 2 shown]
	v_add_nc_u32_e32 v5, s28, v5
	v_add_nc_u32_e32 v4, s27, v4
	;; [unrolled: 1-line block ×4, first 2 shown]
	v_add_co_ci_u32_e64 v15, null, s5, v15, s0
	v_lshrrev_b32_e32 v11, 8, v8
	v_add_co_ci_u32_e64 v17, null, s5, v17, s1
	v_add_co_ci_u32_e64 v19, null, s5, v19, s2
	v_lshrrev_b32_e32 v10, 8, v9
	s_or_b32 s20, vcc_lo, s20
	global_store_byte v[12:13], v8, off
	global_store_byte v[14:15], v11, off
	global_store_byte v[16:17], v9, off
	global_store_byte v[18:19], v10, off
	s_andn2_b32 exec_lo, exec_lo, s20
	s_cbranch_execnz .LBB48_3
; %bb.4:
	s_or_b32 exec_lo, exec_lo, s20
	v_mad_u64_u32 v[1:2], null, v6, s18, v[1:2]
	v_cmp_ne_u32_e32 vcc_lo, v0, v6
	s_orn2_b32 s0, vcc_lo, exec_lo
.LBB48_5:
	s_or_b32 exec_lo, exec_lo, s19
	s_and_b32 exec_lo, exec_lo, s0
	s_cbranch_execz .LBB48_8
; %bb.6:
	v_ashrrev_i32_e32 v0, 31, v1
	v_mad_u64_u32 v[2:3], null, s10, v1, s[8:9]
	v_mul_lo_u32 v4, s11, v1
	s_ashr_i32 s1, s18, 31
	v_mul_lo_u32 v5, s10, v0
	s_mul_hi_u32 s0, s10, s18
	s_mul_i32 s2, s10, s1
	s_mul_i32 s6, s10, s18
	s_add_i32 s0, s0, s2
	s_mul_i32 s2, s11, s18
	s_mov_b32 s7, 0
	s_add_i32 s2, s0, s2
	v_add3_u32 v3, v4, v3, v5
	.p2align	6
.LBB48_7:                               ; =>This Inner Loop Header: Depth=1
	v_add_co_u32 v4, vcc_lo, s4, v1
	v_add_co_ci_u32_e64 v5, null, s5, v0, vcc_lo
	v_add_co_u32 v1, vcc_lo, v1, s18
	v_add_co_ci_u32_e64 v0, null, s1, v0, vcc_lo
	global_store_byte v[4:5], v2, off
	v_cmp_le_i32_e32 vcc_lo, s3, v1
	v_add_co_u32 v2, s0, v2, s6
	v_add_co_ci_u32_e64 v3, null, s2, v3, s0
	s_or_b32 s7, vcc_lo, s7
	s_andn2_b32 exec_lo, exec_lo, s7
	s_cbranch_execnz .LBB48_7
.LBB48_8:
	s_endpgm
	.section	.rodata,"a",@progbits
	.p2align	6, 0x0
	.amdhsa_kernel _ZN12_GLOBAL__N_141elementwise_kernel_with_index_grid_strideIiZZZN2at6native14range_cuda_outERKN3c106ScalarES6_S6_RNS1_6TensorEENKUlvE_clEvENKUlvE0_clEvEUllE_EEvT_T0_PN15function_traitsISD_E11result_typeE
		.amdhsa_group_segment_fixed_size 0
		.amdhsa_private_segment_fixed_size 0
		.amdhsa_kernarg_size 288
		.amdhsa_user_sgpr_count 6
		.amdhsa_user_sgpr_private_segment_buffer 1
		.amdhsa_user_sgpr_dispatch_ptr 0
		.amdhsa_user_sgpr_queue_ptr 0
		.amdhsa_user_sgpr_kernarg_segment_ptr 1
		.amdhsa_user_sgpr_dispatch_id 0
		.amdhsa_user_sgpr_flat_scratch_init 0
		.amdhsa_user_sgpr_private_segment_size 0
		.amdhsa_wavefront_size32 1
		.amdhsa_uses_dynamic_stack 0
		.amdhsa_system_sgpr_private_segment_wavefront_offset 0
		.amdhsa_system_sgpr_workgroup_id_x 1
		.amdhsa_system_sgpr_workgroup_id_y 0
		.amdhsa_system_sgpr_workgroup_id_z 0
		.amdhsa_system_sgpr_workgroup_info 0
		.amdhsa_system_vgpr_workitem_id 0
		.amdhsa_next_free_vgpr 20
		.amdhsa_next_free_sgpr 29
		.amdhsa_reserve_vcc 1
		.amdhsa_reserve_flat_scratch 0
		.amdhsa_float_round_mode_32 0
		.amdhsa_float_round_mode_16_64 0
		.amdhsa_float_denorm_mode_32 3
		.amdhsa_float_denorm_mode_16_64 3
		.amdhsa_dx10_clamp 1
		.amdhsa_ieee_mode 1
		.amdhsa_fp16_overflow 0
		.amdhsa_workgroup_processor_mode 1
		.amdhsa_memory_ordered 1
		.amdhsa_forward_progress 1
		.amdhsa_shared_vgpr_count 0
		.amdhsa_exception_fp_ieee_invalid_op 0
		.amdhsa_exception_fp_denorm_src 0
		.amdhsa_exception_fp_ieee_div_zero 0
		.amdhsa_exception_fp_ieee_overflow 0
		.amdhsa_exception_fp_ieee_underflow 0
		.amdhsa_exception_fp_ieee_inexact 0
		.amdhsa_exception_int_div_zero 0
	.end_amdhsa_kernel
	.section	.text._ZN12_GLOBAL__N_141elementwise_kernel_with_index_grid_strideIiZZZN2at6native14range_cuda_outERKN3c106ScalarES6_S6_RNS1_6TensorEENKUlvE_clEvENKUlvE0_clEvEUllE_EEvT_T0_PN15function_traitsISD_E11result_typeE,"axG",@progbits,_ZN12_GLOBAL__N_141elementwise_kernel_with_index_grid_strideIiZZZN2at6native14range_cuda_outERKN3c106ScalarES6_S6_RNS1_6TensorEENKUlvE_clEvENKUlvE0_clEvEUllE_EEvT_T0_PN15function_traitsISD_E11result_typeE,comdat
.Lfunc_end48:
	.size	_ZN12_GLOBAL__N_141elementwise_kernel_with_index_grid_strideIiZZZN2at6native14range_cuda_outERKN3c106ScalarES6_S6_RNS1_6TensorEENKUlvE_clEvENKUlvE0_clEvEUllE_EEvT_T0_PN15function_traitsISD_E11result_typeE, .Lfunc_end48-_ZN12_GLOBAL__N_141elementwise_kernel_with_index_grid_strideIiZZZN2at6native14range_cuda_outERKN3c106ScalarES6_S6_RNS1_6TensorEENKUlvE_clEvENKUlvE0_clEvEUllE_EEvT_T0_PN15function_traitsISD_E11result_typeE
                                        ; -- End function
	.set _ZN12_GLOBAL__N_141elementwise_kernel_with_index_grid_strideIiZZZN2at6native14range_cuda_outERKN3c106ScalarES6_S6_RNS1_6TensorEENKUlvE_clEvENKUlvE0_clEvEUllE_EEvT_T0_PN15function_traitsISD_E11result_typeE.num_vgpr, 20
	.set _ZN12_GLOBAL__N_141elementwise_kernel_with_index_grid_strideIiZZZN2at6native14range_cuda_outERKN3c106ScalarES6_S6_RNS1_6TensorEENKUlvE_clEvENKUlvE0_clEvEUllE_EEvT_T0_PN15function_traitsISD_E11result_typeE.num_agpr, 0
	.set _ZN12_GLOBAL__N_141elementwise_kernel_with_index_grid_strideIiZZZN2at6native14range_cuda_outERKN3c106ScalarES6_S6_RNS1_6TensorEENKUlvE_clEvENKUlvE0_clEvEUllE_EEvT_T0_PN15function_traitsISD_E11result_typeE.numbered_sgpr, 29
	.set _ZN12_GLOBAL__N_141elementwise_kernel_with_index_grid_strideIiZZZN2at6native14range_cuda_outERKN3c106ScalarES6_S6_RNS1_6TensorEENKUlvE_clEvENKUlvE0_clEvEUllE_EEvT_T0_PN15function_traitsISD_E11result_typeE.num_named_barrier, 0
	.set _ZN12_GLOBAL__N_141elementwise_kernel_with_index_grid_strideIiZZZN2at6native14range_cuda_outERKN3c106ScalarES6_S6_RNS1_6TensorEENKUlvE_clEvENKUlvE0_clEvEUllE_EEvT_T0_PN15function_traitsISD_E11result_typeE.private_seg_size, 0
	.set _ZN12_GLOBAL__N_141elementwise_kernel_with_index_grid_strideIiZZZN2at6native14range_cuda_outERKN3c106ScalarES6_S6_RNS1_6TensorEENKUlvE_clEvENKUlvE0_clEvEUllE_EEvT_T0_PN15function_traitsISD_E11result_typeE.uses_vcc, 1
	.set _ZN12_GLOBAL__N_141elementwise_kernel_with_index_grid_strideIiZZZN2at6native14range_cuda_outERKN3c106ScalarES6_S6_RNS1_6TensorEENKUlvE_clEvENKUlvE0_clEvEUllE_EEvT_T0_PN15function_traitsISD_E11result_typeE.uses_flat_scratch, 0
	.set _ZN12_GLOBAL__N_141elementwise_kernel_with_index_grid_strideIiZZZN2at6native14range_cuda_outERKN3c106ScalarES6_S6_RNS1_6TensorEENKUlvE_clEvENKUlvE0_clEvEUllE_EEvT_T0_PN15function_traitsISD_E11result_typeE.has_dyn_sized_stack, 0
	.set _ZN12_GLOBAL__N_141elementwise_kernel_with_index_grid_strideIiZZZN2at6native14range_cuda_outERKN3c106ScalarES6_S6_RNS1_6TensorEENKUlvE_clEvENKUlvE0_clEvEUllE_EEvT_T0_PN15function_traitsISD_E11result_typeE.has_recursion, 0
	.set _ZN12_GLOBAL__N_141elementwise_kernel_with_index_grid_strideIiZZZN2at6native14range_cuda_outERKN3c106ScalarES6_S6_RNS1_6TensorEENKUlvE_clEvENKUlvE0_clEvEUllE_EEvT_T0_PN15function_traitsISD_E11result_typeE.has_indirect_call, 0
	.section	.AMDGPU.csdata,"",@progbits
; Kernel info:
; codeLenInByte = 844
; TotalNumSgprs: 31
; NumVgprs: 20
; ScratchSize: 0
; MemoryBound: 0
; FloatMode: 240
; IeeeMode: 1
; LDSByteSize: 0 bytes/workgroup (compile time only)
; SGPRBlocks: 0
; VGPRBlocks: 2
; NumSGPRsForWavesPerEU: 31
; NumVGPRsForWavesPerEU: 20
; Occupancy: 16
; WaveLimiterHint : 0
; COMPUTE_PGM_RSRC2:SCRATCH_EN: 0
; COMPUTE_PGM_RSRC2:USER_SGPR: 6
; COMPUTE_PGM_RSRC2:TRAP_HANDLER: 0
; COMPUTE_PGM_RSRC2:TGID_X_EN: 1
; COMPUTE_PGM_RSRC2:TGID_Y_EN: 0
; COMPUTE_PGM_RSRC2:TGID_Z_EN: 0
; COMPUTE_PGM_RSRC2:TIDIG_COMP_CNT: 0
	.section	.text._ZN12_GLOBAL__N_141elementwise_kernel_with_index_grid_strideIlZZZN2at6native14range_cuda_outERKN3c106ScalarES6_S6_RNS1_6TensorEENKUlvE_clEvENKUlvE0_clEvEUllE_EEvT_T0_PN15function_traitsISD_E11result_typeE,"axG",@progbits,_ZN12_GLOBAL__N_141elementwise_kernel_with_index_grid_strideIlZZZN2at6native14range_cuda_outERKN3c106ScalarES6_S6_RNS1_6TensorEENKUlvE_clEvENKUlvE0_clEvEUllE_EEvT_T0_PN15function_traitsISD_E11result_typeE,comdat
	.globl	_ZN12_GLOBAL__N_141elementwise_kernel_with_index_grid_strideIlZZZN2at6native14range_cuda_outERKN3c106ScalarES6_S6_RNS1_6TensorEENKUlvE_clEvENKUlvE0_clEvEUllE_EEvT_T0_PN15function_traitsISD_E11result_typeE ; -- Begin function _ZN12_GLOBAL__N_141elementwise_kernel_with_index_grid_strideIlZZZN2at6native14range_cuda_outERKN3c106ScalarES6_S6_RNS1_6TensorEENKUlvE_clEvENKUlvE0_clEvEUllE_EEvT_T0_PN15function_traitsISD_E11result_typeE
	.p2align	8
	.type	_ZN12_GLOBAL__N_141elementwise_kernel_with_index_grid_strideIlZZZN2at6native14range_cuda_outERKN3c106ScalarES6_S6_RNS1_6TensorEENKUlvE_clEvENKUlvE0_clEvEUllE_EEvT_T0_PN15function_traitsISD_E11result_typeE,@function
_ZN12_GLOBAL__N_141elementwise_kernel_with_index_grid_strideIlZZZN2at6native14range_cuda_outERKN3c106ScalarES6_S6_RNS1_6TensorEENKUlvE_clEvENKUlvE0_clEvEUllE_EEvT_T0_PN15function_traitsISD_E11result_typeE: ; @_ZN12_GLOBAL__N_141elementwise_kernel_with_index_grid_strideIlZZZN2at6native14range_cuda_outERKN3c106ScalarES6_S6_RNS1_6TensorEENKUlvE_clEvENKUlvE0_clEvEUllE_EEvT_T0_PN15function_traitsISD_E11result_typeE
; %bb.0:
	s_clause 0x1
	s_load_dword s2, s[4:5], 0x2c
	s_load_dwordx8 s[8:15], s[4:5], 0x0
	s_add_u32 s0, s4, 32
	s_addc_u32 s1, s5, 0
	v_mov_b32_e32 v3, 0
	s_waitcnt lgkmcnt(0)
	s_and_b32 s7, s2, 0xffff
	s_mul_i32 s25, s7, s6
	s_mul_hi_u32 s24, s7, s6
	v_add_co_u32 v1, s2, s25, v0
	v_add_co_ci_u32_e64 v2, null, s24, 0, s2
	s_mov_b32 s2, exec_lo
	v_cmpx_gt_i64_e64 s[8:9], v[1:2]
	s_cbranch_execz .LBB49_12
; %bb.1:
	s_load_dword s4, s[0:1], 0x0
	s_mov_b32 s5, 0
	s_waitcnt lgkmcnt(0)
	s_add_u32 s0, s6, s4
	s_addc_u32 s1, 0, 0
	s_mul_hi_u32 s2, s0, s7
	s_mul_i32 s1, s1, s7
	s_mul_i32 s26, s0, s7
	s_add_i32 s27, s2, s1
	v_add_co_u32 v6, s0, s26, v0
	v_add_co_ci_u32_e64 v7, null, s27, 0, s0
	s_mul_hi_u32 s3, s7, s4
	s_mul_i32 s2, s7, s4
	v_cmp_gt_i64_e32 vcc_lo, s[8:9], v[6:7]
	v_cndmask_b32_e64 v5, 0, 1, vcc_lo
	v_cndmask_b32_e64 v4, v7, s9, vcc_lo
	;; [unrolled: 1-line block ×3, first 2 shown]
	v_add_co_u32 v6, vcc_lo, v6, v5
	v_add_co_ci_u32_e64 v7, null, 0, v7, vcc_lo
	v_sub_co_u32 v6, vcc_lo, v8, v6
	v_sub_co_ci_u32_e64 v7, null, v4, v7, vcc_lo
	v_or_b32_e32 v4, s3, v7
	v_cmp_ne_u64_e32 vcc_lo, 0, v[3:4]
                                        ; implicit-def: $vgpr3_vgpr4
	s_and_saveexec_b32 s0, vcc_lo
	s_xor_b32 s1, exec_lo, s0
	s_cbranch_execz .LBB49_3
; %bb.2:
	v_cvt_f32_u32_e32 v3, s2
	v_cvt_f32_u32_e32 v4, s3
	s_sub_u32 s17, 0, s2
	s_subb_u32 s18, 0, s3
	v_fmamk_f32 v3, v4, 0x4f800000, v3
	v_rcp_f32_e32 v3, v3
	v_mul_f32_e32 v3, 0x5f7ffffc, v3
	v_mul_f32_e32 v4, 0x2f800000, v3
	v_trunc_f32_e32 v4, v4
	v_fmamk_f32 v3, v4, 0xcf800000, v3
	v_cvt_u32_f32_e32 v4, v4
	v_cvt_u32_f32_e32 v3, v3
	v_readfirstlane_b32 s0, v4
	v_readfirstlane_b32 s16, v3
	s_mul_i32 s19, s17, s0
	s_mul_hi_u32 s21, s17, s16
	s_mul_i32 s20, s18, s16
	s_add_i32 s19, s21, s19
	s_mul_i32 s22, s17, s16
	s_add_i32 s19, s19, s20
	s_mul_hi_u32 s21, s16, s22
	s_mul_i32 s28, s16, s19
	s_mul_hi_u32 s23, s0, s22
	s_mul_i32 s20, s0, s22
	s_mul_hi_u32 s22, s16, s19
	s_add_u32 s21, s21, s28
	s_addc_u32 s22, 0, s22
	s_mul_hi_u32 s29, s0, s19
	s_add_u32 s20, s21, s20
	s_mul_i32 s19, s0, s19
	s_addc_u32 s20, s22, s23
	s_addc_u32 s21, s29, 0
	s_add_u32 s19, s20, s19
	s_addc_u32 s20, 0, s21
	s_add_u32 s16, s16, s19
	s_cselect_b32 s19, -1, 0
	s_mul_hi_u32 s21, s17, s16
	s_cmp_lg_u32 s19, 0
	s_mul_i32 s19, s17, s16
	s_addc_u32 s0, s0, s20
	s_mul_i32 s18, s18, s16
	s_mul_i32 s17, s17, s0
	s_mul_hi_u32 s20, s16, s19
	s_add_i32 s17, s21, s17
	s_mul_hi_u32 s21, s0, s19
	s_add_i32 s17, s17, s18
	s_mul_i32 s18, s0, s19
	s_mul_i32 s23, s16, s17
	s_mul_hi_u32 s22, s16, s17
	s_add_u32 s20, s20, s23
	s_addc_u32 s22, 0, s22
	s_mul_hi_u32 s19, s0, s17
	s_add_u32 s18, s20, s18
	s_mul_i32 s17, s0, s17
	s_addc_u32 s18, s22, s21
	s_addc_u32 s19, s19, 0
	s_add_u32 s17, s18, s17
	s_addc_u32 s18, 0, s19
	s_add_u32 s16, s16, s17
	s_cselect_b32 s17, -1, 0
	v_mul_hi_u32 v12, v6, s16
	s_cmp_lg_u32 s17, 0
	v_mad_u64_u32 v[8:9], null, v7, s16, 0
	s_addc_u32 s0, s0, s18
	v_mad_u64_u32 v[3:4], null, v6, s0, 0
	v_mad_u64_u32 v[10:11], null, v7, s0, 0
	v_add_co_u32 v3, vcc_lo, v12, v3
	v_add_co_ci_u32_e64 v4, null, 0, v4, vcc_lo
	v_add_co_u32 v3, vcc_lo, v3, v8
	v_add_co_ci_u32_e32 v3, vcc_lo, v4, v9, vcc_lo
	v_add_co_ci_u32_e32 v4, vcc_lo, 0, v11, vcc_lo
	v_add_co_u32 v8, vcc_lo, v3, v10
	v_add_co_ci_u32_e64 v9, null, 0, v4, vcc_lo
	v_mul_lo_u32 v10, s3, v8
	v_mad_u64_u32 v[3:4], null, s2, v8, 0
	v_mul_lo_u32 v11, s2, v9
	v_sub_co_u32 v3, vcc_lo, v6, v3
	v_add3_u32 v4, v4, v11, v10
	v_sub_nc_u32_e32 v10, v7, v4
	v_sub_co_ci_u32_e64 v4, null, v7, v4, vcc_lo
	v_subrev_co_ci_u32_e64 v6, null, s3, v10, vcc_lo
	v_add_co_u32 v10, s0, v8, 2
	v_add_co_ci_u32_e64 v11, null, 0, v9, s0
	v_sub_co_u32 v12, s0, v3, s2
	v_subrev_co_ci_u32_e64 v6, null, 0, v6, s0
	v_cmp_eq_u32_e64 s0, s3, v4
	v_cmp_le_u32_e32 vcc_lo, s2, v12
	v_cndmask_b32_e64 v7, 0, -1, vcc_lo
	v_cmp_le_u32_e32 vcc_lo, s3, v6
	v_cndmask_b32_e64 v12, 0, -1, vcc_lo
	;; [unrolled: 2-line block ×4, first 2 shown]
	v_cmp_eq_u32_e32 vcc_lo, s3, v6
	v_cndmask_b32_e64 v3, v13, v3, s0
	v_cndmask_b32_e32 v6, v12, v7, vcc_lo
	v_add_co_u32 v7, vcc_lo, v8, 1
	v_add_co_ci_u32_e64 v12, null, 0, v9, vcc_lo
	v_cmp_ne_u32_e32 vcc_lo, 0, v6
	v_cndmask_b32_e32 v4, v12, v11, vcc_lo
	v_cndmask_b32_e32 v6, v7, v10, vcc_lo
	v_cmp_ne_u32_e32 vcc_lo, 0, v3
	v_cndmask_b32_e32 v4, v9, v4, vcc_lo
	v_cndmask_b32_e32 v3, v8, v6, vcc_lo
                                        ; implicit-def: $vgpr6
.LBB49_3:
	s_andn2_saveexec_b32 s0, s1
	s_cbranch_execz .LBB49_5
; %bb.4:
	v_cvt_f32_u32_e32 v3, s2
	s_sub_i32 s1, 0, s2
	v_rcp_iflag_f32_e32 v3, v3
	v_mul_f32_e32 v3, 0x4f7ffffe, v3
	v_cvt_u32_f32_e32 v3, v3
	v_mul_lo_u32 v4, s1, v3
	v_mul_hi_u32 v4, v3, v4
	v_add_nc_u32_e32 v3, v3, v4
	v_mul_hi_u32 v3, v6, v3
	v_mul_lo_u32 v4, v3, s2
	v_sub_nc_u32_e32 v4, v6, v4
	v_add_nc_u32_e32 v6, 1, v3
	v_subrev_nc_u32_e32 v7, s2, v4
	v_cmp_le_u32_e32 vcc_lo, s2, v4
	v_cndmask_b32_e32 v4, v4, v7, vcc_lo
	v_cndmask_b32_e32 v3, v3, v6, vcc_lo
	v_cmp_le_u32_e32 vcc_lo, s2, v4
	v_add_nc_u32_e32 v6, 1, v3
	v_mov_b32_e32 v4, 0
	v_cndmask_b32_e32 v3, v3, v6, vcc_lo
.LBB49_5:
	s_or_b32 exec_lo, exec_lo, s0
	v_add_co_u32 v3, vcc_lo, v3, v5
	v_add_co_ci_u32_e64 v4, null, 0, v4, vcc_lo
	s_mov_b32 s0, -1
	v_add_co_u32 v11, vcc_lo, v3, 1
	v_add_co_ci_u32_e64 v12, null, 0, v4, vcc_lo
	s_mov_b32 s28, exec_lo
	v_cmpx_lt_u64_e32 3, v[11:12]
	s_cbranch_execz .LBB49_9
; %bb.6:
	v_mad_u64_u32 v[7:8], null, s2, 3, v[1:2]
	s_mul_i32 s38, s4, 3
	v_mad_u64_u32 v[5:6], null, s2, 2, v[1:2]
	v_mad_u64_u32 v[3:4], null, s2, 1, v[1:2]
	s_lshl_b64 s[22:23], s[2:3], 2
	s_mul_hi_u32 s39, s4, 3
	v_mad_u64_u32 v[8:9], null, s3, 3, v[8:9]
	s_add_u32 s41, s38, s6
	s_addc_u32 s39, s39, 0
	v_mov_b32_e32 v14, v12
	s_mul_i32 s40, s39, s7
	s_mul_hi_u32 s42, s41, s7
	v_and_b32_e32 v13, -4, v11
	s_add_i32 s40, s42, s40
	s_lshl_b64 s[42:43], s[4:5], 1
	v_lshl_add_u32 v6, s3, 1, v6
	v_add_nc_u32_e32 v4, s3, v4
	s_mul_i32 s5, s41, s7
	s_add_u32 s41, s42, s6
	v_add_co_u32 v0, s42, s14, v0
	s_addc_u32 s6, s43, 0
	v_mov_b32_e32 v16, v14
	v_mov_b32_e32 v10, v8
	v_add_co_ci_u32_e64 v17, null, s15, 0, s42
	v_mov_b32_e32 v15, v13
	v_mov_b32_e32 v9, v7
	;; [unrolled: 1-line block ×8, first 2 shown]
	s_mul_i32 s6, s6, s7
	s_mul_hi_u32 s42, s41, s7
	s_mov_b32 s29, s12
	s_mov_b32 s30, s12
	;; [unrolled: 1-line block ×18, first 2 shown]
	s_add_i32 s6, s42, s6
	s_mul_i32 s42, s41, s7
	s_mov_b32 s41, 0
.LBB49_7:                               ; =>This Inner Loop Header: Depth=1
	v_mad_u64_u32 v[18:19], null, v3, s29, s[0:1]
	v_mad_u64_u32 v[19:20], null, v5, s30, s[16:17]
	;; [unrolled: 1-line block ×4, first 2 shown]
	v_add_co_u32 v22, vcc_lo, v0, s25
	v_add_co_ci_u32_e64 v23, null, s24, v17, vcc_lo
	v_add_co_u32 v24, vcc_lo, v0, s26
	v_add_co_ci_u32_e64 v25, null, s27, v17, vcc_lo
	;; [unrolled: 2-line block ×6, first 2 shown]
	v_add_co_u32 v5, vcc_lo, v5, s34
	v_lshlrev_b16 v19, 8, v19
	v_add_co_ci_u32_e64 v6, null, s35, v6, vcc_lo
	v_add_co_u32 v3, vcc_lo, v3, s22
	v_add_co_ci_u32_e64 v4, null, s23, v4, vcc_lo
	v_add_co_u32 v15, vcc_lo, v15, -4
	v_or_b32_sdwa v18, v18, v19 dst_sel:DWORD dst_unused:UNUSED_PAD src0_sel:BYTE_0 src1_sel:DWORD
	v_add_co_ci_u32_e64 v16, null, -1, v16, vcc_lo
	v_lshlrev_b16 v21, 8, v21
	v_add_co_u32 v0, vcc_lo, v0, s22
	v_and_b32_e32 v18, 0xffff, v18
	v_add_co_ci_u32_e64 v17, null, s23, v17, vcc_lo
	v_cmp_eq_u64_e32 vcc_lo, 0, v[15:16]
	v_or_b32_sdwa v19, v20, v21 dst_sel:DWORD dst_unused:UNUSED_PAD src0_sel:BYTE_0 src1_sel:DWORD
	v_lshrrev_b32_e32 v21, 8, v18
	v_lshrrev_b32_e32 v20, 8, v19
	s_or_b32 s41, vcc_lo, s41
	global_store_byte v[22:23], v18, off
	global_store_byte v[24:25], v21, off
	;; [unrolled: 1-line block ×4, first 2 shown]
	s_andn2_b32 exec_lo, exec_lo, s41
	s_cbranch_execnz .LBB49_7
; %bb.8:
	s_or_b32 exec_lo, exec_lo, s41
	v_mad_u64_u32 v[1:2], null, v13, s2, v[1:2]
	v_mul_lo_u32 v0, v13, s3
	v_mul_lo_u32 v3, v14, s2
	v_cmp_ne_u64_e32 vcc_lo, v[11:12], v[13:14]
	s_orn2_b32 s0, vcc_lo, exec_lo
	v_add3_u32 v2, v3, v2, v0
.LBB49_9:
	s_or_b32 exec_lo, exec_lo, s28
	s_and_b32 exec_lo, exec_lo, s0
	s_cbranch_execz .LBB49_12
; %bb.10:
	v_mad_u64_u32 v[3:4], null, v1, s12, s[10:11]
	v_mul_lo_u32 v0, v1, s13
	v_mul_lo_u32 v5, v2, s12
	s_mul_i32 s0, s13, s7
	s_mul_hi_u32 s1, s12, s7
	s_mul_i32 s5, s12, s7
	s_add_i32 s0, s1, s0
	s_mul_hi_u32 s1, s5, s4
	s_mul_i32 s0, s0, s4
	s_mul_i32 s4, s5, s4
	v_add3_u32 v4, v5, v4, v0
	s_add_i32 s1, s1, s0
	s_mov_b32 s5, 0
	.p2align	6
.LBB49_11:                              ; =>This Inner Loop Header: Depth=1
	v_add_co_u32 v5, vcc_lo, s14, v1
	v_add_co_ci_u32_e64 v6, null, s15, v2, vcc_lo
	v_add_co_u32 v1, vcc_lo, v1, s2
	v_add_co_ci_u32_e64 v2, null, s3, v2, vcc_lo
	global_store_byte v[5:6], v3, off
	v_add_co_u32 v3, s0, v3, s4
	v_cmp_le_i64_e32 vcc_lo, s[8:9], v[1:2]
	v_add_co_ci_u32_e64 v4, null, s1, v4, s0
	s_or_b32 s5, vcc_lo, s5
	s_andn2_b32 exec_lo, exec_lo, s5
	s_cbranch_execnz .LBB49_11
.LBB49_12:
	s_endpgm
	.section	.rodata,"a",@progbits
	.p2align	6, 0x0
	.amdhsa_kernel _ZN12_GLOBAL__N_141elementwise_kernel_with_index_grid_strideIlZZZN2at6native14range_cuda_outERKN3c106ScalarES6_S6_RNS1_6TensorEENKUlvE_clEvENKUlvE0_clEvEUllE_EEvT_T0_PN15function_traitsISD_E11result_typeE
		.amdhsa_group_segment_fixed_size 0
		.amdhsa_private_segment_fixed_size 0
		.amdhsa_kernarg_size 288
		.amdhsa_user_sgpr_count 6
		.amdhsa_user_sgpr_private_segment_buffer 1
		.amdhsa_user_sgpr_dispatch_ptr 0
		.amdhsa_user_sgpr_queue_ptr 0
		.amdhsa_user_sgpr_kernarg_segment_ptr 1
		.amdhsa_user_sgpr_dispatch_id 0
		.amdhsa_user_sgpr_flat_scratch_init 0
		.amdhsa_user_sgpr_private_segment_size 0
		.amdhsa_wavefront_size32 1
		.amdhsa_uses_dynamic_stack 0
		.amdhsa_system_sgpr_private_segment_wavefront_offset 0
		.amdhsa_system_sgpr_workgroup_id_x 1
		.amdhsa_system_sgpr_workgroup_id_y 0
		.amdhsa_system_sgpr_workgroup_id_z 0
		.amdhsa_system_sgpr_workgroup_info 0
		.amdhsa_system_vgpr_workitem_id 0
		.amdhsa_next_free_vgpr 30
		.amdhsa_next_free_sgpr 44
		.amdhsa_reserve_vcc 1
		.amdhsa_reserve_flat_scratch 0
		.amdhsa_float_round_mode_32 0
		.amdhsa_float_round_mode_16_64 0
		.amdhsa_float_denorm_mode_32 3
		.amdhsa_float_denorm_mode_16_64 3
		.amdhsa_dx10_clamp 1
		.amdhsa_ieee_mode 1
		.amdhsa_fp16_overflow 0
		.amdhsa_workgroup_processor_mode 1
		.amdhsa_memory_ordered 1
		.amdhsa_forward_progress 1
		.amdhsa_shared_vgpr_count 0
		.amdhsa_exception_fp_ieee_invalid_op 0
		.amdhsa_exception_fp_denorm_src 0
		.amdhsa_exception_fp_ieee_div_zero 0
		.amdhsa_exception_fp_ieee_overflow 0
		.amdhsa_exception_fp_ieee_underflow 0
		.amdhsa_exception_fp_ieee_inexact 0
		.amdhsa_exception_int_div_zero 0
	.end_amdhsa_kernel
	.section	.text._ZN12_GLOBAL__N_141elementwise_kernel_with_index_grid_strideIlZZZN2at6native14range_cuda_outERKN3c106ScalarES6_S6_RNS1_6TensorEENKUlvE_clEvENKUlvE0_clEvEUllE_EEvT_T0_PN15function_traitsISD_E11result_typeE,"axG",@progbits,_ZN12_GLOBAL__N_141elementwise_kernel_with_index_grid_strideIlZZZN2at6native14range_cuda_outERKN3c106ScalarES6_S6_RNS1_6TensorEENKUlvE_clEvENKUlvE0_clEvEUllE_EEvT_T0_PN15function_traitsISD_E11result_typeE,comdat
.Lfunc_end49:
	.size	_ZN12_GLOBAL__N_141elementwise_kernel_with_index_grid_strideIlZZZN2at6native14range_cuda_outERKN3c106ScalarES6_S6_RNS1_6TensorEENKUlvE_clEvENKUlvE0_clEvEUllE_EEvT_T0_PN15function_traitsISD_E11result_typeE, .Lfunc_end49-_ZN12_GLOBAL__N_141elementwise_kernel_with_index_grid_strideIlZZZN2at6native14range_cuda_outERKN3c106ScalarES6_S6_RNS1_6TensorEENKUlvE_clEvENKUlvE0_clEvEUllE_EEvT_T0_PN15function_traitsISD_E11result_typeE
                                        ; -- End function
	.set _ZN12_GLOBAL__N_141elementwise_kernel_with_index_grid_strideIlZZZN2at6native14range_cuda_outERKN3c106ScalarES6_S6_RNS1_6TensorEENKUlvE_clEvENKUlvE0_clEvEUllE_EEvT_T0_PN15function_traitsISD_E11result_typeE.num_vgpr, 30
	.set _ZN12_GLOBAL__N_141elementwise_kernel_with_index_grid_strideIlZZZN2at6native14range_cuda_outERKN3c106ScalarES6_S6_RNS1_6TensorEENKUlvE_clEvENKUlvE0_clEvEUllE_EEvT_T0_PN15function_traitsISD_E11result_typeE.num_agpr, 0
	.set _ZN12_GLOBAL__N_141elementwise_kernel_with_index_grid_strideIlZZZN2at6native14range_cuda_outERKN3c106ScalarES6_S6_RNS1_6TensorEENKUlvE_clEvENKUlvE0_clEvEUllE_EEvT_T0_PN15function_traitsISD_E11result_typeE.numbered_sgpr, 44
	.set _ZN12_GLOBAL__N_141elementwise_kernel_with_index_grid_strideIlZZZN2at6native14range_cuda_outERKN3c106ScalarES6_S6_RNS1_6TensorEENKUlvE_clEvENKUlvE0_clEvEUllE_EEvT_T0_PN15function_traitsISD_E11result_typeE.num_named_barrier, 0
	.set _ZN12_GLOBAL__N_141elementwise_kernel_with_index_grid_strideIlZZZN2at6native14range_cuda_outERKN3c106ScalarES6_S6_RNS1_6TensorEENKUlvE_clEvENKUlvE0_clEvEUllE_EEvT_T0_PN15function_traitsISD_E11result_typeE.private_seg_size, 0
	.set _ZN12_GLOBAL__N_141elementwise_kernel_with_index_grid_strideIlZZZN2at6native14range_cuda_outERKN3c106ScalarES6_S6_RNS1_6TensorEENKUlvE_clEvENKUlvE0_clEvEUllE_EEvT_T0_PN15function_traitsISD_E11result_typeE.uses_vcc, 1
	.set _ZN12_GLOBAL__N_141elementwise_kernel_with_index_grid_strideIlZZZN2at6native14range_cuda_outERKN3c106ScalarES6_S6_RNS1_6TensorEENKUlvE_clEvENKUlvE0_clEvEUllE_EEvT_T0_PN15function_traitsISD_E11result_typeE.uses_flat_scratch, 0
	.set _ZN12_GLOBAL__N_141elementwise_kernel_with_index_grid_strideIlZZZN2at6native14range_cuda_outERKN3c106ScalarES6_S6_RNS1_6TensorEENKUlvE_clEvENKUlvE0_clEvEUllE_EEvT_T0_PN15function_traitsISD_E11result_typeE.has_dyn_sized_stack, 0
	.set _ZN12_GLOBAL__N_141elementwise_kernel_with_index_grid_strideIlZZZN2at6native14range_cuda_outERKN3c106ScalarES6_S6_RNS1_6TensorEENKUlvE_clEvENKUlvE0_clEvEUllE_EEvT_T0_PN15function_traitsISD_E11result_typeE.has_recursion, 0
	.set _ZN12_GLOBAL__N_141elementwise_kernel_with_index_grid_strideIlZZZN2at6native14range_cuda_outERKN3c106ScalarES6_S6_RNS1_6TensorEENKUlvE_clEvENKUlvE0_clEvEUllE_EEvT_T0_PN15function_traitsISD_E11result_typeE.has_indirect_call, 0
	.section	.AMDGPU.csdata,"",@progbits
; Kernel info:
; codeLenInByte = 1676
; TotalNumSgprs: 46
; NumVgprs: 30
; ScratchSize: 0
; MemoryBound: 0
; FloatMode: 240
; IeeeMode: 1
; LDSByteSize: 0 bytes/workgroup (compile time only)
; SGPRBlocks: 0
; VGPRBlocks: 3
; NumSGPRsForWavesPerEU: 46
; NumVGPRsForWavesPerEU: 30
; Occupancy: 16
; WaveLimiterHint : 0
; COMPUTE_PGM_RSRC2:SCRATCH_EN: 0
; COMPUTE_PGM_RSRC2:USER_SGPR: 6
; COMPUTE_PGM_RSRC2:TRAP_HANDLER: 0
; COMPUTE_PGM_RSRC2:TGID_X_EN: 1
; COMPUTE_PGM_RSRC2:TGID_Y_EN: 0
; COMPUTE_PGM_RSRC2:TGID_Z_EN: 0
; COMPUTE_PGM_RSRC2:TIDIG_COMP_CNT: 0
	.section	.text._ZN12_GLOBAL__N_141elementwise_kernel_with_index_grid_strideIiZZZN2at6native14range_cuda_outERKN3c106ScalarES6_S6_RNS1_6TensorEENKUlvE_clEvENKUlvE1_clEvEUllE_EEvT_T0_PN15function_traitsISD_E11result_typeE,"axG",@progbits,_ZN12_GLOBAL__N_141elementwise_kernel_with_index_grid_strideIiZZZN2at6native14range_cuda_outERKN3c106ScalarES6_S6_RNS1_6TensorEENKUlvE_clEvENKUlvE1_clEvEUllE_EEvT_T0_PN15function_traitsISD_E11result_typeE,comdat
	.globl	_ZN12_GLOBAL__N_141elementwise_kernel_with_index_grid_strideIiZZZN2at6native14range_cuda_outERKN3c106ScalarES6_S6_RNS1_6TensorEENKUlvE_clEvENKUlvE1_clEvEUllE_EEvT_T0_PN15function_traitsISD_E11result_typeE ; -- Begin function _ZN12_GLOBAL__N_141elementwise_kernel_with_index_grid_strideIiZZZN2at6native14range_cuda_outERKN3c106ScalarES6_S6_RNS1_6TensorEENKUlvE_clEvENKUlvE1_clEvEUllE_EEvT_T0_PN15function_traitsISD_E11result_typeE
	.p2align	8
	.type	_ZN12_GLOBAL__N_141elementwise_kernel_with_index_grid_strideIiZZZN2at6native14range_cuda_outERKN3c106ScalarES6_S6_RNS1_6TensorEENKUlvE_clEvENKUlvE1_clEvEUllE_EEvT_T0_PN15function_traitsISD_E11result_typeE,@function
_ZN12_GLOBAL__N_141elementwise_kernel_with_index_grid_strideIiZZZN2at6native14range_cuda_outERKN3c106ScalarES6_S6_RNS1_6TensorEENKUlvE_clEvENKUlvE1_clEvEUllE_EEvT_T0_PN15function_traitsISD_E11result_typeE: ; @_ZN12_GLOBAL__N_141elementwise_kernel_with_index_grid_strideIiZZZN2at6native14range_cuda_outERKN3c106ScalarES6_S6_RNS1_6TensorEENKUlvE_clEvENKUlvE1_clEvEUllE_EEvT_T0_PN15function_traitsISD_E11result_typeE
; %bb.0:
	s_clause 0x1
	s_load_dword s2, s[4:5], 0x2c
	s_load_dword s7, s[4:5], 0x0
	s_add_u32 s0, s4, 32
	s_addc_u32 s1, s5, 0
	s_mov_b32 s3, exec_lo
	s_waitcnt lgkmcnt(0)
	s_and_b32 s2, s2, 0xffff
	v_mad_u64_u32 v[0:1], null, s6, s2, v[0:1]
	v_cmpx_gt_i32_e64 s7, v0
	s_cbranch_execz .LBB50_3
; %bb.1:
	s_load_dword s3, s[0:1], 0x0
	s_clause 0x1
	s_load_dwordx4 s[8:11], s[4:5], 0x8
	s_load_dwordx2 s[0:1], s[4:5], 0x18
	v_ashrrev_i32_e32 v1, 31, v0
	v_lshlrev_b64 v[3:4], 2, v[0:1]
	s_waitcnt lgkmcnt(0)
	s_mul_i32 s2, s3, s2
	v_mad_u64_u32 v[1:2], null, v0, s10, s[8:9]
	v_add_co_u32 v2, vcc_lo, s0, v3
	v_add_co_ci_u32_e64 v3, null, s1, v4, vcc_lo
	s_ashr_i32 s3, s2, 31
	s_mul_i32 s1, s2, s10
	s_lshl_b64 s[4:5], s[2:3], 2
	s_mov_b32 s3, 0
.LBB50_2:                               ; =>This Inner Loop Header: Depth=1
	v_add_nc_u32_e32 v0, s2, v0
	global_store_dword v[2:3], v1, off
	v_add_co_u32 v2, vcc_lo, v2, s4
	v_add_co_ci_u32_e64 v3, null, s5, v3, vcc_lo
	v_cmp_le_i32_e64 s0, s7, v0
	v_add_nc_u32_e32 v1, s1, v1
	s_or_b32 s3, s0, s3
	s_andn2_b32 exec_lo, exec_lo, s3
	s_cbranch_execnz .LBB50_2
.LBB50_3:
	s_endpgm
	.section	.rodata,"a",@progbits
	.p2align	6, 0x0
	.amdhsa_kernel _ZN12_GLOBAL__N_141elementwise_kernel_with_index_grid_strideIiZZZN2at6native14range_cuda_outERKN3c106ScalarES6_S6_RNS1_6TensorEENKUlvE_clEvENKUlvE1_clEvEUllE_EEvT_T0_PN15function_traitsISD_E11result_typeE
		.amdhsa_group_segment_fixed_size 0
		.amdhsa_private_segment_fixed_size 0
		.amdhsa_kernarg_size 288
		.amdhsa_user_sgpr_count 6
		.amdhsa_user_sgpr_private_segment_buffer 1
		.amdhsa_user_sgpr_dispatch_ptr 0
		.amdhsa_user_sgpr_queue_ptr 0
		.amdhsa_user_sgpr_kernarg_segment_ptr 1
		.amdhsa_user_sgpr_dispatch_id 0
		.amdhsa_user_sgpr_flat_scratch_init 0
		.amdhsa_user_sgpr_private_segment_size 0
		.amdhsa_wavefront_size32 1
		.amdhsa_uses_dynamic_stack 0
		.amdhsa_system_sgpr_private_segment_wavefront_offset 0
		.amdhsa_system_sgpr_workgroup_id_x 1
		.amdhsa_system_sgpr_workgroup_id_y 0
		.amdhsa_system_sgpr_workgroup_id_z 0
		.amdhsa_system_sgpr_workgroup_info 0
		.amdhsa_system_vgpr_workitem_id 0
		.amdhsa_next_free_vgpr 5
		.amdhsa_next_free_sgpr 12
		.amdhsa_reserve_vcc 1
		.amdhsa_reserve_flat_scratch 0
		.amdhsa_float_round_mode_32 0
		.amdhsa_float_round_mode_16_64 0
		.amdhsa_float_denorm_mode_32 3
		.amdhsa_float_denorm_mode_16_64 3
		.amdhsa_dx10_clamp 1
		.amdhsa_ieee_mode 1
		.amdhsa_fp16_overflow 0
		.amdhsa_workgroup_processor_mode 1
		.amdhsa_memory_ordered 1
		.amdhsa_forward_progress 1
		.amdhsa_shared_vgpr_count 0
		.amdhsa_exception_fp_ieee_invalid_op 0
		.amdhsa_exception_fp_denorm_src 0
		.amdhsa_exception_fp_ieee_div_zero 0
		.amdhsa_exception_fp_ieee_overflow 0
		.amdhsa_exception_fp_ieee_underflow 0
		.amdhsa_exception_fp_ieee_inexact 0
		.amdhsa_exception_int_div_zero 0
	.end_amdhsa_kernel
	.section	.text._ZN12_GLOBAL__N_141elementwise_kernel_with_index_grid_strideIiZZZN2at6native14range_cuda_outERKN3c106ScalarES6_S6_RNS1_6TensorEENKUlvE_clEvENKUlvE1_clEvEUllE_EEvT_T0_PN15function_traitsISD_E11result_typeE,"axG",@progbits,_ZN12_GLOBAL__N_141elementwise_kernel_with_index_grid_strideIiZZZN2at6native14range_cuda_outERKN3c106ScalarES6_S6_RNS1_6TensorEENKUlvE_clEvENKUlvE1_clEvEUllE_EEvT_T0_PN15function_traitsISD_E11result_typeE,comdat
.Lfunc_end50:
	.size	_ZN12_GLOBAL__N_141elementwise_kernel_with_index_grid_strideIiZZZN2at6native14range_cuda_outERKN3c106ScalarES6_S6_RNS1_6TensorEENKUlvE_clEvENKUlvE1_clEvEUllE_EEvT_T0_PN15function_traitsISD_E11result_typeE, .Lfunc_end50-_ZN12_GLOBAL__N_141elementwise_kernel_with_index_grid_strideIiZZZN2at6native14range_cuda_outERKN3c106ScalarES6_S6_RNS1_6TensorEENKUlvE_clEvENKUlvE1_clEvEUllE_EEvT_T0_PN15function_traitsISD_E11result_typeE
                                        ; -- End function
	.set _ZN12_GLOBAL__N_141elementwise_kernel_with_index_grid_strideIiZZZN2at6native14range_cuda_outERKN3c106ScalarES6_S6_RNS1_6TensorEENKUlvE_clEvENKUlvE1_clEvEUllE_EEvT_T0_PN15function_traitsISD_E11result_typeE.num_vgpr, 5
	.set _ZN12_GLOBAL__N_141elementwise_kernel_with_index_grid_strideIiZZZN2at6native14range_cuda_outERKN3c106ScalarES6_S6_RNS1_6TensorEENKUlvE_clEvENKUlvE1_clEvEUllE_EEvT_T0_PN15function_traitsISD_E11result_typeE.num_agpr, 0
	.set _ZN12_GLOBAL__N_141elementwise_kernel_with_index_grid_strideIiZZZN2at6native14range_cuda_outERKN3c106ScalarES6_S6_RNS1_6TensorEENKUlvE_clEvENKUlvE1_clEvEUllE_EEvT_T0_PN15function_traitsISD_E11result_typeE.numbered_sgpr, 12
	.set _ZN12_GLOBAL__N_141elementwise_kernel_with_index_grid_strideIiZZZN2at6native14range_cuda_outERKN3c106ScalarES6_S6_RNS1_6TensorEENKUlvE_clEvENKUlvE1_clEvEUllE_EEvT_T0_PN15function_traitsISD_E11result_typeE.num_named_barrier, 0
	.set _ZN12_GLOBAL__N_141elementwise_kernel_with_index_grid_strideIiZZZN2at6native14range_cuda_outERKN3c106ScalarES6_S6_RNS1_6TensorEENKUlvE_clEvENKUlvE1_clEvEUllE_EEvT_T0_PN15function_traitsISD_E11result_typeE.private_seg_size, 0
	.set _ZN12_GLOBAL__N_141elementwise_kernel_with_index_grid_strideIiZZZN2at6native14range_cuda_outERKN3c106ScalarES6_S6_RNS1_6TensorEENKUlvE_clEvENKUlvE1_clEvEUllE_EEvT_T0_PN15function_traitsISD_E11result_typeE.uses_vcc, 1
	.set _ZN12_GLOBAL__N_141elementwise_kernel_with_index_grid_strideIiZZZN2at6native14range_cuda_outERKN3c106ScalarES6_S6_RNS1_6TensorEENKUlvE_clEvENKUlvE1_clEvEUllE_EEvT_T0_PN15function_traitsISD_E11result_typeE.uses_flat_scratch, 0
	.set _ZN12_GLOBAL__N_141elementwise_kernel_with_index_grid_strideIiZZZN2at6native14range_cuda_outERKN3c106ScalarES6_S6_RNS1_6TensorEENKUlvE_clEvENKUlvE1_clEvEUllE_EEvT_T0_PN15function_traitsISD_E11result_typeE.has_dyn_sized_stack, 0
	.set _ZN12_GLOBAL__N_141elementwise_kernel_with_index_grid_strideIiZZZN2at6native14range_cuda_outERKN3c106ScalarES6_S6_RNS1_6TensorEENKUlvE_clEvENKUlvE1_clEvEUllE_EEvT_T0_PN15function_traitsISD_E11result_typeE.has_recursion, 0
	.set _ZN12_GLOBAL__N_141elementwise_kernel_with_index_grid_strideIiZZZN2at6native14range_cuda_outERKN3c106ScalarES6_S6_RNS1_6TensorEENKUlvE_clEvENKUlvE1_clEvEUllE_EEvT_T0_PN15function_traitsISD_E11result_typeE.has_indirect_call, 0
	.section	.AMDGPU.csdata,"",@progbits
; Kernel info:
; codeLenInByte = 208
; TotalNumSgprs: 14
; NumVgprs: 5
; ScratchSize: 0
; MemoryBound: 0
; FloatMode: 240
; IeeeMode: 1
; LDSByteSize: 0 bytes/workgroup (compile time only)
; SGPRBlocks: 0
; VGPRBlocks: 0
; NumSGPRsForWavesPerEU: 14
; NumVGPRsForWavesPerEU: 5
; Occupancy: 16
; WaveLimiterHint : 0
; COMPUTE_PGM_RSRC2:SCRATCH_EN: 0
; COMPUTE_PGM_RSRC2:USER_SGPR: 6
; COMPUTE_PGM_RSRC2:TRAP_HANDLER: 0
; COMPUTE_PGM_RSRC2:TGID_X_EN: 1
; COMPUTE_PGM_RSRC2:TGID_Y_EN: 0
; COMPUTE_PGM_RSRC2:TGID_Z_EN: 0
; COMPUTE_PGM_RSRC2:TIDIG_COMP_CNT: 0
	.section	.text._ZN12_GLOBAL__N_141elementwise_kernel_with_index_grid_strideIlZZZN2at6native14range_cuda_outERKN3c106ScalarES6_S6_RNS1_6TensorEENKUlvE_clEvENKUlvE1_clEvEUllE_EEvT_T0_PN15function_traitsISD_E11result_typeE,"axG",@progbits,_ZN12_GLOBAL__N_141elementwise_kernel_with_index_grid_strideIlZZZN2at6native14range_cuda_outERKN3c106ScalarES6_S6_RNS1_6TensorEENKUlvE_clEvENKUlvE1_clEvEUllE_EEvT_T0_PN15function_traitsISD_E11result_typeE,comdat
	.globl	_ZN12_GLOBAL__N_141elementwise_kernel_with_index_grid_strideIlZZZN2at6native14range_cuda_outERKN3c106ScalarES6_S6_RNS1_6TensorEENKUlvE_clEvENKUlvE1_clEvEUllE_EEvT_T0_PN15function_traitsISD_E11result_typeE ; -- Begin function _ZN12_GLOBAL__N_141elementwise_kernel_with_index_grid_strideIlZZZN2at6native14range_cuda_outERKN3c106ScalarES6_S6_RNS1_6TensorEENKUlvE_clEvENKUlvE1_clEvEUllE_EEvT_T0_PN15function_traitsISD_E11result_typeE
	.p2align	8
	.type	_ZN12_GLOBAL__N_141elementwise_kernel_with_index_grid_strideIlZZZN2at6native14range_cuda_outERKN3c106ScalarES6_S6_RNS1_6TensorEENKUlvE_clEvENKUlvE1_clEvEUllE_EEvT_T0_PN15function_traitsISD_E11result_typeE,@function
_ZN12_GLOBAL__N_141elementwise_kernel_with_index_grid_strideIlZZZN2at6native14range_cuda_outERKN3c106ScalarES6_S6_RNS1_6TensorEENKUlvE_clEvENKUlvE1_clEvEUllE_EEvT_T0_PN15function_traitsISD_E11result_typeE: ; @_ZN12_GLOBAL__N_141elementwise_kernel_with_index_grid_strideIlZZZN2at6native14range_cuda_outERKN3c106ScalarES6_S6_RNS1_6TensorEENKUlvE_clEvENKUlvE1_clEvEUllE_EEvT_T0_PN15function_traitsISD_E11result_typeE
; %bb.0:
	s_clause 0x1
	s_load_dword s2, s[4:5], 0x2c
	s_load_dwordx8 s[8:15], s[4:5], 0x0
	v_mov_b32_e32 v1, 0
	s_add_u32 s0, s4, 32
	s_addc_u32 s1, s5, 0
	s_waitcnt lgkmcnt(0)
	s_and_b32 s3, s2, 0xffff
	s_mov_b32 s2, exec_lo
	v_mad_u64_u32 v[1:2], null, s3, s6, v[0:1]
	v_cmpx_gt_i64_e64 s[8:9], v[1:2]
	s_cbranch_execz .LBB51_3
; %bb.1:
	s_load_dword s0, s[0:1], 0x0
	v_mad_u64_u32 v[3:4], null, s6, s3, v[0:1]
	v_lshlrev_b64 v[5:6], 2, v[1:2]
	s_mov_b32 s1, 0
	v_mad_u64_u32 v[3:4], null, v3, s12, s[10:11]
	v_add_co_u32 v4, vcc_lo, s14, v5
	v_add_co_ci_u32_e64 v5, null, s15, v6, vcc_lo
	s_waitcnt lgkmcnt(0)
	s_mul_i32 s2, s3, s0
	s_mul_hi_u32 s3, s3, s0
	s_mul_i32 s6, s2, s12
	s_lshl_b64 s[4:5], s[2:3], 2
.LBB51_2:                               ; =>This Inner Loop Header: Depth=1
	v_add_co_u32 v1, vcc_lo, v1, s2
	v_add_co_ci_u32_e64 v2, null, s3, v2, vcc_lo
	global_store_dword v[4:5], v3, off
	v_add_co_u32 v4, s0, v4, s4
	v_cmp_le_i64_e32 vcc_lo, s[8:9], v[1:2]
	v_add_nc_u32_e32 v3, s6, v3
	v_add_co_ci_u32_e64 v5, null, s5, v5, s0
	s_or_b32 s1, vcc_lo, s1
	s_andn2_b32 exec_lo, exec_lo, s1
	s_cbranch_execnz .LBB51_2
.LBB51_3:
	s_endpgm
	.section	.rodata,"a",@progbits
	.p2align	6, 0x0
	.amdhsa_kernel _ZN12_GLOBAL__N_141elementwise_kernel_with_index_grid_strideIlZZZN2at6native14range_cuda_outERKN3c106ScalarES6_S6_RNS1_6TensorEENKUlvE_clEvENKUlvE1_clEvEUllE_EEvT_T0_PN15function_traitsISD_E11result_typeE
		.amdhsa_group_segment_fixed_size 0
		.amdhsa_private_segment_fixed_size 0
		.amdhsa_kernarg_size 288
		.amdhsa_user_sgpr_count 6
		.amdhsa_user_sgpr_private_segment_buffer 1
		.amdhsa_user_sgpr_dispatch_ptr 0
		.amdhsa_user_sgpr_queue_ptr 0
		.amdhsa_user_sgpr_kernarg_segment_ptr 1
		.amdhsa_user_sgpr_dispatch_id 0
		.amdhsa_user_sgpr_flat_scratch_init 0
		.amdhsa_user_sgpr_private_segment_size 0
		.amdhsa_wavefront_size32 1
		.amdhsa_uses_dynamic_stack 0
		.amdhsa_system_sgpr_private_segment_wavefront_offset 0
		.amdhsa_system_sgpr_workgroup_id_x 1
		.amdhsa_system_sgpr_workgroup_id_y 0
		.amdhsa_system_sgpr_workgroup_id_z 0
		.amdhsa_system_sgpr_workgroup_info 0
		.amdhsa_system_vgpr_workitem_id 0
		.amdhsa_next_free_vgpr 7
		.amdhsa_next_free_sgpr 16
		.amdhsa_reserve_vcc 1
		.amdhsa_reserve_flat_scratch 0
		.amdhsa_float_round_mode_32 0
		.amdhsa_float_round_mode_16_64 0
		.amdhsa_float_denorm_mode_32 3
		.amdhsa_float_denorm_mode_16_64 3
		.amdhsa_dx10_clamp 1
		.amdhsa_ieee_mode 1
		.amdhsa_fp16_overflow 0
		.amdhsa_workgroup_processor_mode 1
		.amdhsa_memory_ordered 1
		.amdhsa_forward_progress 1
		.amdhsa_shared_vgpr_count 0
		.amdhsa_exception_fp_ieee_invalid_op 0
		.amdhsa_exception_fp_denorm_src 0
		.amdhsa_exception_fp_ieee_div_zero 0
		.amdhsa_exception_fp_ieee_overflow 0
		.amdhsa_exception_fp_ieee_underflow 0
		.amdhsa_exception_fp_ieee_inexact 0
		.amdhsa_exception_int_div_zero 0
	.end_amdhsa_kernel
	.section	.text._ZN12_GLOBAL__N_141elementwise_kernel_with_index_grid_strideIlZZZN2at6native14range_cuda_outERKN3c106ScalarES6_S6_RNS1_6TensorEENKUlvE_clEvENKUlvE1_clEvEUllE_EEvT_T0_PN15function_traitsISD_E11result_typeE,"axG",@progbits,_ZN12_GLOBAL__N_141elementwise_kernel_with_index_grid_strideIlZZZN2at6native14range_cuda_outERKN3c106ScalarES6_S6_RNS1_6TensorEENKUlvE_clEvENKUlvE1_clEvEUllE_EEvT_T0_PN15function_traitsISD_E11result_typeE,comdat
.Lfunc_end51:
	.size	_ZN12_GLOBAL__N_141elementwise_kernel_with_index_grid_strideIlZZZN2at6native14range_cuda_outERKN3c106ScalarES6_S6_RNS1_6TensorEENKUlvE_clEvENKUlvE1_clEvEUllE_EEvT_T0_PN15function_traitsISD_E11result_typeE, .Lfunc_end51-_ZN12_GLOBAL__N_141elementwise_kernel_with_index_grid_strideIlZZZN2at6native14range_cuda_outERKN3c106ScalarES6_S6_RNS1_6TensorEENKUlvE_clEvENKUlvE1_clEvEUllE_EEvT_T0_PN15function_traitsISD_E11result_typeE
                                        ; -- End function
	.set _ZN12_GLOBAL__N_141elementwise_kernel_with_index_grid_strideIlZZZN2at6native14range_cuda_outERKN3c106ScalarES6_S6_RNS1_6TensorEENKUlvE_clEvENKUlvE1_clEvEUllE_EEvT_T0_PN15function_traitsISD_E11result_typeE.num_vgpr, 7
	.set _ZN12_GLOBAL__N_141elementwise_kernel_with_index_grid_strideIlZZZN2at6native14range_cuda_outERKN3c106ScalarES6_S6_RNS1_6TensorEENKUlvE_clEvENKUlvE1_clEvEUllE_EEvT_T0_PN15function_traitsISD_E11result_typeE.num_agpr, 0
	.set _ZN12_GLOBAL__N_141elementwise_kernel_with_index_grid_strideIlZZZN2at6native14range_cuda_outERKN3c106ScalarES6_S6_RNS1_6TensorEENKUlvE_clEvENKUlvE1_clEvEUllE_EEvT_T0_PN15function_traitsISD_E11result_typeE.numbered_sgpr, 16
	.set _ZN12_GLOBAL__N_141elementwise_kernel_with_index_grid_strideIlZZZN2at6native14range_cuda_outERKN3c106ScalarES6_S6_RNS1_6TensorEENKUlvE_clEvENKUlvE1_clEvEUllE_EEvT_T0_PN15function_traitsISD_E11result_typeE.num_named_barrier, 0
	.set _ZN12_GLOBAL__N_141elementwise_kernel_with_index_grid_strideIlZZZN2at6native14range_cuda_outERKN3c106ScalarES6_S6_RNS1_6TensorEENKUlvE_clEvENKUlvE1_clEvEUllE_EEvT_T0_PN15function_traitsISD_E11result_typeE.private_seg_size, 0
	.set _ZN12_GLOBAL__N_141elementwise_kernel_with_index_grid_strideIlZZZN2at6native14range_cuda_outERKN3c106ScalarES6_S6_RNS1_6TensorEENKUlvE_clEvENKUlvE1_clEvEUllE_EEvT_T0_PN15function_traitsISD_E11result_typeE.uses_vcc, 1
	.set _ZN12_GLOBAL__N_141elementwise_kernel_with_index_grid_strideIlZZZN2at6native14range_cuda_outERKN3c106ScalarES6_S6_RNS1_6TensorEENKUlvE_clEvENKUlvE1_clEvEUllE_EEvT_T0_PN15function_traitsISD_E11result_typeE.uses_flat_scratch, 0
	.set _ZN12_GLOBAL__N_141elementwise_kernel_with_index_grid_strideIlZZZN2at6native14range_cuda_outERKN3c106ScalarES6_S6_RNS1_6TensorEENKUlvE_clEvENKUlvE1_clEvEUllE_EEvT_T0_PN15function_traitsISD_E11result_typeE.has_dyn_sized_stack, 0
	.set _ZN12_GLOBAL__N_141elementwise_kernel_with_index_grid_strideIlZZZN2at6native14range_cuda_outERKN3c106ScalarES6_S6_RNS1_6TensorEENKUlvE_clEvENKUlvE1_clEvEUllE_EEvT_T0_PN15function_traitsISD_E11result_typeE.has_recursion, 0
	.set _ZN12_GLOBAL__N_141elementwise_kernel_with_index_grid_strideIlZZZN2at6native14range_cuda_outERKN3c106ScalarES6_S6_RNS1_6TensorEENKUlvE_clEvENKUlvE1_clEvEUllE_EEvT_T0_PN15function_traitsISD_E11result_typeE.has_indirect_call, 0
	.section	.AMDGPU.csdata,"",@progbits
; Kernel info:
; codeLenInByte = 204
; TotalNumSgprs: 18
; NumVgprs: 7
; ScratchSize: 0
; MemoryBound: 0
; FloatMode: 240
; IeeeMode: 1
; LDSByteSize: 0 bytes/workgroup (compile time only)
; SGPRBlocks: 0
; VGPRBlocks: 0
; NumSGPRsForWavesPerEU: 18
; NumVGPRsForWavesPerEU: 7
; Occupancy: 16
; WaveLimiterHint : 0
; COMPUTE_PGM_RSRC2:SCRATCH_EN: 0
; COMPUTE_PGM_RSRC2:USER_SGPR: 6
; COMPUTE_PGM_RSRC2:TRAP_HANDLER: 0
; COMPUTE_PGM_RSRC2:TGID_X_EN: 1
; COMPUTE_PGM_RSRC2:TGID_Y_EN: 0
; COMPUTE_PGM_RSRC2:TGID_Z_EN: 0
; COMPUTE_PGM_RSRC2:TIDIG_COMP_CNT: 0
	.section	.text._ZN12_GLOBAL__N_141elementwise_kernel_with_index_grid_strideIiZZZN2at6native14range_cuda_outERKN3c106ScalarES6_S6_RNS1_6TensorEENKUlvE_clEvENKUlvE2_clEvEUllE_EEvT_T0_PN15function_traitsISD_E11result_typeE,"axG",@progbits,_ZN12_GLOBAL__N_141elementwise_kernel_with_index_grid_strideIiZZZN2at6native14range_cuda_outERKN3c106ScalarES6_S6_RNS1_6TensorEENKUlvE_clEvENKUlvE2_clEvEUllE_EEvT_T0_PN15function_traitsISD_E11result_typeE,comdat
	.globl	_ZN12_GLOBAL__N_141elementwise_kernel_with_index_grid_strideIiZZZN2at6native14range_cuda_outERKN3c106ScalarES6_S6_RNS1_6TensorEENKUlvE_clEvENKUlvE2_clEvEUllE_EEvT_T0_PN15function_traitsISD_E11result_typeE ; -- Begin function _ZN12_GLOBAL__N_141elementwise_kernel_with_index_grid_strideIiZZZN2at6native14range_cuda_outERKN3c106ScalarES6_S6_RNS1_6TensorEENKUlvE_clEvENKUlvE2_clEvEUllE_EEvT_T0_PN15function_traitsISD_E11result_typeE
	.p2align	8
	.type	_ZN12_GLOBAL__N_141elementwise_kernel_with_index_grid_strideIiZZZN2at6native14range_cuda_outERKN3c106ScalarES6_S6_RNS1_6TensorEENKUlvE_clEvENKUlvE2_clEvEUllE_EEvT_T0_PN15function_traitsISD_E11result_typeE,@function
_ZN12_GLOBAL__N_141elementwise_kernel_with_index_grid_strideIiZZZN2at6native14range_cuda_outERKN3c106ScalarES6_S6_RNS1_6TensorEENKUlvE_clEvENKUlvE2_clEvEUllE_EEvT_T0_PN15function_traitsISD_E11result_typeE: ; @_ZN12_GLOBAL__N_141elementwise_kernel_with_index_grid_strideIiZZZN2at6native14range_cuda_outERKN3c106ScalarES6_S6_RNS1_6TensorEENKUlvE_clEvENKUlvE2_clEvEUllE_EEvT_T0_PN15function_traitsISD_E11result_typeE
; %bb.0:
	s_clause 0x1
	s_load_dword s2, s[4:5], 0x2c
	s_load_dword s7, s[4:5], 0x0
	s_add_u32 s0, s4, 32
	s_addc_u32 s1, s5, 0
	s_mov_b32 s3, exec_lo
	s_waitcnt lgkmcnt(0)
	s_and_b32 s2, s2, 0xffff
	v_mad_u64_u32 v[0:1], null, s6, s2, v[0:1]
	v_cmpx_gt_i32_e64 s7, v0
	s_cbranch_execz .LBB52_3
; %bb.1:
	s_load_dword s3, s[0:1], 0x0
	s_clause 0x1
	s_load_dwordx4 s[8:11], s[4:5], 0x8
	s_load_dwordx2 s[0:1], s[4:5], 0x18
	v_ashrrev_i32_e32 v1, 31, v0
	s_mov_b32 s6, 0
	v_lshlrev_b64 v[3:4], 3, v[0:1]
	s_waitcnt lgkmcnt(0)
	s_mul_i32 s2, s3, s2
	v_mul_lo_u32 v5, s11, v0
	v_mul_lo_u32 v6, s10, v1
	v_mad_u64_u32 v[1:2], null, s10, v0, s[8:9]
	s_ashr_i32 s3, s2, 31
	v_add_co_u32 v3, vcc_lo, s0, v3
	v_add_co_ci_u32_e64 v4, null, s1, v4, vcc_lo
	s_mul_i32 s0, s10, s3
	s_mul_hi_u32 s1, s10, s2
	v_add3_u32 v2, v5, v2, v6
	s_add_i32 s0, s1, s0
	s_mul_i32 s1, s11, s2
	s_lshl_b64 s[4:5], s[2:3], 3
	s_add_i32 s1, s0, s1
	s_mul_i32 s3, s10, s2
.LBB52_2:                               ; =>This Inner Loop Header: Depth=1
	v_add_nc_u32_e32 v0, s2, v0
	global_store_dwordx2 v[3:4], v[1:2], off
	v_add_co_u32 v3, vcc_lo, v3, s4
	v_add_co_ci_u32_e64 v4, null, s5, v4, vcc_lo
	v_cmp_le_i32_e32 vcc_lo, s7, v0
	v_add_co_u32 v1, s0, v1, s3
	v_add_co_ci_u32_e64 v2, null, s1, v2, s0
	s_or_b32 s6, vcc_lo, s6
	s_andn2_b32 exec_lo, exec_lo, s6
	s_cbranch_execnz .LBB52_2
.LBB52_3:
	s_endpgm
	.section	.rodata,"a",@progbits
	.p2align	6, 0x0
	.amdhsa_kernel _ZN12_GLOBAL__N_141elementwise_kernel_with_index_grid_strideIiZZZN2at6native14range_cuda_outERKN3c106ScalarES6_S6_RNS1_6TensorEENKUlvE_clEvENKUlvE2_clEvEUllE_EEvT_T0_PN15function_traitsISD_E11result_typeE
		.amdhsa_group_segment_fixed_size 0
		.amdhsa_private_segment_fixed_size 0
		.amdhsa_kernarg_size 288
		.amdhsa_user_sgpr_count 6
		.amdhsa_user_sgpr_private_segment_buffer 1
		.amdhsa_user_sgpr_dispatch_ptr 0
		.amdhsa_user_sgpr_queue_ptr 0
		.amdhsa_user_sgpr_kernarg_segment_ptr 1
		.amdhsa_user_sgpr_dispatch_id 0
		.amdhsa_user_sgpr_flat_scratch_init 0
		.amdhsa_user_sgpr_private_segment_size 0
		.amdhsa_wavefront_size32 1
		.amdhsa_uses_dynamic_stack 0
		.amdhsa_system_sgpr_private_segment_wavefront_offset 0
		.amdhsa_system_sgpr_workgroup_id_x 1
		.amdhsa_system_sgpr_workgroup_id_y 0
		.amdhsa_system_sgpr_workgroup_id_z 0
		.amdhsa_system_sgpr_workgroup_info 0
		.amdhsa_system_vgpr_workitem_id 0
		.amdhsa_next_free_vgpr 7
		.amdhsa_next_free_sgpr 12
		.amdhsa_reserve_vcc 1
		.amdhsa_reserve_flat_scratch 0
		.amdhsa_float_round_mode_32 0
		.amdhsa_float_round_mode_16_64 0
		.amdhsa_float_denorm_mode_32 3
		.amdhsa_float_denorm_mode_16_64 3
		.amdhsa_dx10_clamp 1
		.amdhsa_ieee_mode 1
		.amdhsa_fp16_overflow 0
		.amdhsa_workgroup_processor_mode 1
		.amdhsa_memory_ordered 1
		.amdhsa_forward_progress 1
		.amdhsa_shared_vgpr_count 0
		.amdhsa_exception_fp_ieee_invalid_op 0
		.amdhsa_exception_fp_denorm_src 0
		.amdhsa_exception_fp_ieee_div_zero 0
		.amdhsa_exception_fp_ieee_overflow 0
		.amdhsa_exception_fp_ieee_underflow 0
		.amdhsa_exception_fp_ieee_inexact 0
		.amdhsa_exception_int_div_zero 0
	.end_amdhsa_kernel
	.section	.text._ZN12_GLOBAL__N_141elementwise_kernel_with_index_grid_strideIiZZZN2at6native14range_cuda_outERKN3c106ScalarES6_S6_RNS1_6TensorEENKUlvE_clEvENKUlvE2_clEvEUllE_EEvT_T0_PN15function_traitsISD_E11result_typeE,"axG",@progbits,_ZN12_GLOBAL__N_141elementwise_kernel_with_index_grid_strideIiZZZN2at6native14range_cuda_outERKN3c106ScalarES6_S6_RNS1_6TensorEENKUlvE_clEvENKUlvE2_clEvEUllE_EEvT_T0_PN15function_traitsISD_E11result_typeE,comdat
.Lfunc_end52:
	.size	_ZN12_GLOBAL__N_141elementwise_kernel_with_index_grid_strideIiZZZN2at6native14range_cuda_outERKN3c106ScalarES6_S6_RNS1_6TensorEENKUlvE_clEvENKUlvE2_clEvEUllE_EEvT_T0_PN15function_traitsISD_E11result_typeE, .Lfunc_end52-_ZN12_GLOBAL__N_141elementwise_kernel_with_index_grid_strideIiZZZN2at6native14range_cuda_outERKN3c106ScalarES6_S6_RNS1_6TensorEENKUlvE_clEvENKUlvE2_clEvEUllE_EEvT_T0_PN15function_traitsISD_E11result_typeE
                                        ; -- End function
	.set _ZN12_GLOBAL__N_141elementwise_kernel_with_index_grid_strideIiZZZN2at6native14range_cuda_outERKN3c106ScalarES6_S6_RNS1_6TensorEENKUlvE_clEvENKUlvE2_clEvEUllE_EEvT_T0_PN15function_traitsISD_E11result_typeE.num_vgpr, 7
	.set _ZN12_GLOBAL__N_141elementwise_kernel_with_index_grid_strideIiZZZN2at6native14range_cuda_outERKN3c106ScalarES6_S6_RNS1_6TensorEENKUlvE_clEvENKUlvE2_clEvEUllE_EEvT_T0_PN15function_traitsISD_E11result_typeE.num_agpr, 0
	.set _ZN12_GLOBAL__N_141elementwise_kernel_with_index_grid_strideIiZZZN2at6native14range_cuda_outERKN3c106ScalarES6_S6_RNS1_6TensorEENKUlvE_clEvENKUlvE2_clEvEUllE_EEvT_T0_PN15function_traitsISD_E11result_typeE.numbered_sgpr, 12
	.set _ZN12_GLOBAL__N_141elementwise_kernel_with_index_grid_strideIiZZZN2at6native14range_cuda_outERKN3c106ScalarES6_S6_RNS1_6TensorEENKUlvE_clEvENKUlvE2_clEvEUllE_EEvT_T0_PN15function_traitsISD_E11result_typeE.num_named_barrier, 0
	.set _ZN12_GLOBAL__N_141elementwise_kernel_with_index_grid_strideIiZZZN2at6native14range_cuda_outERKN3c106ScalarES6_S6_RNS1_6TensorEENKUlvE_clEvENKUlvE2_clEvEUllE_EEvT_T0_PN15function_traitsISD_E11result_typeE.private_seg_size, 0
	.set _ZN12_GLOBAL__N_141elementwise_kernel_with_index_grid_strideIiZZZN2at6native14range_cuda_outERKN3c106ScalarES6_S6_RNS1_6TensorEENKUlvE_clEvENKUlvE2_clEvEUllE_EEvT_T0_PN15function_traitsISD_E11result_typeE.uses_vcc, 1
	.set _ZN12_GLOBAL__N_141elementwise_kernel_with_index_grid_strideIiZZZN2at6native14range_cuda_outERKN3c106ScalarES6_S6_RNS1_6TensorEENKUlvE_clEvENKUlvE2_clEvEUllE_EEvT_T0_PN15function_traitsISD_E11result_typeE.uses_flat_scratch, 0
	.set _ZN12_GLOBAL__N_141elementwise_kernel_with_index_grid_strideIiZZZN2at6native14range_cuda_outERKN3c106ScalarES6_S6_RNS1_6TensorEENKUlvE_clEvENKUlvE2_clEvEUllE_EEvT_T0_PN15function_traitsISD_E11result_typeE.has_dyn_sized_stack, 0
	.set _ZN12_GLOBAL__N_141elementwise_kernel_with_index_grid_strideIiZZZN2at6native14range_cuda_outERKN3c106ScalarES6_S6_RNS1_6TensorEENKUlvE_clEvENKUlvE2_clEvEUllE_EEvT_T0_PN15function_traitsISD_E11result_typeE.has_recursion, 0
	.set _ZN12_GLOBAL__N_141elementwise_kernel_with_index_grid_strideIiZZZN2at6native14range_cuda_outERKN3c106ScalarES6_S6_RNS1_6TensorEENKUlvE_clEvENKUlvE2_clEvEUllE_EEvT_T0_PN15function_traitsISD_E11result_typeE.has_indirect_call, 0
	.section	.AMDGPU.csdata,"",@progbits
; Kernel info:
; codeLenInByte = 260
; TotalNumSgprs: 14
; NumVgprs: 7
; ScratchSize: 0
; MemoryBound: 0
; FloatMode: 240
; IeeeMode: 1
; LDSByteSize: 0 bytes/workgroup (compile time only)
; SGPRBlocks: 0
; VGPRBlocks: 0
; NumSGPRsForWavesPerEU: 14
; NumVGPRsForWavesPerEU: 7
; Occupancy: 16
; WaveLimiterHint : 0
; COMPUTE_PGM_RSRC2:SCRATCH_EN: 0
; COMPUTE_PGM_RSRC2:USER_SGPR: 6
; COMPUTE_PGM_RSRC2:TRAP_HANDLER: 0
; COMPUTE_PGM_RSRC2:TGID_X_EN: 1
; COMPUTE_PGM_RSRC2:TGID_Y_EN: 0
; COMPUTE_PGM_RSRC2:TGID_Z_EN: 0
; COMPUTE_PGM_RSRC2:TIDIG_COMP_CNT: 0
	.section	.text._ZN12_GLOBAL__N_141elementwise_kernel_with_index_grid_strideIlZZZN2at6native14range_cuda_outERKN3c106ScalarES6_S6_RNS1_6TensorEENKUlvE_clEvENKUlvE2_clEvEUllE_EEvT_T0_PN15function_traitsISD_E11result_typeE,"axG",@progbits,_ZN12_GLOBAL__N_141elementwise_kernel_with_index_grid_strideIlZZZN2at6native14range_cuda_outERKN3c106ScalarES6_S6_RNS1_6TensorEENKUlvE_clEvENKUlvE2_clEvEUllE_EEvT_T0_PN15function_traitsISD_E11result_typeE,comdat
	.globl	_ZN12_GLOBAL__N_141elementwise_kernel_with_index_grid_strideIlZZZN2at6native14range_cuda_outERKN3c106ScalarES6_S6_RNS1_6TensorEENKUlvE_clEvENKUlvE2_clEvEUllE_EEvT_T0_PN15function_traitsISD_E11result_typeE ; -- Begin function _ZN12_GLOBAL__N_141elementwise_kernel_with_index_grid_strideIlZZZN2at6native14range_cuda_outERKN3c106ScalarES6_S6_RNS1_6TensorEENKUlvE_clEvENKUlvE2_clEvEUllE_EEvT_T0_PN15function_traitsISD_E11result_typeE
	.p2align	8
	.type	_ZN12_GLOBAL__N_141elementwise_kernel_with_index_grid_strideIlZZZN2at6native14range_cuda_outERKN3c106ScalarES6_S6_RNS1_6TensorEENKUlvE_clEvENKUlvE2_clEvEUllE_EEvT_T0_PN15function_traitsISD_E11result_typeE,@function
_ZN12_GLOBAL__N_141elementwise_kernel_with_index_grid_strideIlZZZN2at6native14range_cuda_outERKN3c106ScalarES6_S6_RNS1_6TensorEENKUlvE_clEvENKUlvE2_clEvEUllE_EEvT_T0_PN15function_traitsISD_E11result_typeE: ; @_ZN12_GLOBAL__N_141elementwise_kernel_with_index_grid_strideIlZZZN2at6native14range_cuda_outERKN3c106ScalarES6_S6_RNS1_6TensorEENKUlvE_clEvENKUlvE2_clEvEUllE_EEvT_T0_PN15function_traitsISD_E11result_typeE
; %bb.0:
	s_clause 0x1
	s_load_dword s2, s[4:5], 0x2c
	s_load_dwordx8 s[8:15], s[4:5], 0x0
	v_mov_b32_e32 v1, 0
	s_add_u32 s0, s4, 32
	s_addc_u32 s1, s5, 0
	s_waitcnt lgkmcnt(0)
	s_and_b32 s3, s2, 0xffff
	s_mov_b32 s2, exec_lo
	v_mad_u64_u32 v[0:1], null, s3, s6, v[0:1]
	v_cmpx_gt_i64_e64 s[8:9], v[0:1]
	s_cbranch_execz .LBB53_3
; %bb.1:
	s_load_dword s0, s[0:1], 0x0
	v_mul_lo_u32 v6, s12, v1
	v_mul_lo_u32 v7, s13, v0
	v_lshlrev_b64 v[4:5], 3, v[0:1]
	v_mad_u64_u32 v[2:3], null, s12, v0, s[10:11]
	s_mov_b32 s1, 0
	v_add_co_u32 v4, vcc_lo, s14, v4
	v_add_co_ci_u32_e64 v5, null, s15, v5, vcc_lo
	v_add3_u32 v3, v7, v3, v6
	s_waitcnt lgkmcnt(0)
	s_mul_i32 s2, s3, s0
	s_mul_hi_u32 s3, s3, s0
	s_mul_i32 s0, s2, s13
	s_mul_hi_u32 s4, s2, s12
	s_mul_i32 s5, s3, s12
	s_add_i32 s0, s4, s0
	s_mul_i32 s6, s2, s12
	s_add_i32 s7, s0, s5
	s_lshl_b64 s[4:5], s[2:3], 3
	.p2align	6
.LBB53_2:                               ; =>This Inner Loop Header: Depth=1
	v_add_co_u32 v0, vcc_lo, v0, s2
	v_add_co_ci_u32_e64 v1, null, s3, v1, vcc_lo
	global_store_dwordx2 v[4:5], v[2:3], off
	v_add_co_u32 v2, vcc_lo, v2, s6
	v_add_co_ci_u32_e64 v3, null, s7, v3, vcc_lo
	v_cmp_le_i64_e32 vcc_lo, s[8:9], v[0:1]
	v_add_co_u32 v4, s0, v4, s4
	v_add_co_ci_u32_e64 v5, null, s5, v5, s0
	s_or_b32 s1, vcc_lo, s1
	s_andn2_b32 exec_lo, exec_lo, s1
	s_cbranch_execnz .LBB53_2
.LBB53_3:
	s_endpgm
	.section	.rodata,"a",@progbits
	.p2align	6, 0x0
	.amdhsa_kernel _ZN12_GLOBAL__N_141elementwise_kernel_with_index_grid_strideIlZZZN2at6native14range_cuda_outERKN3c106ScalarES6_S6_RNS1_6TensorEENKUlvE_clEvENKUlvE2_clEvEUllE_EEvT_T0_PN15function_traitsISD_E11result_typeE
		.amdhsa_group_segment_fixed_size 0
		.amdhsa_private_segment_fixed_size 0
		.amdhsa_kernarg_size 288
		.amdhsa_user_sgpr_count 6
		.amdhsa_user_sgpr_private_segment_buffer 1
		.amdhsa_user_sgpr_dispatch_ptr 0
		.amdhsa_user_sgpr_queue_ptr 0
		.amdhsa_user_sgpr_kernarg_segment_ptr 1
		.amdhsa_user_sgpr_dispatch_id 0
		.amdhsa_user_sgpr_flat_scratch_init 0
		.amdhsa_user_sgpr_private_segment_size 0
		.amdhsa_wavefront_size32 1
		.amdhsa_uses_dynamic_stack 0
		.amdhsa_system_sgpr_private_segment_wavefront_offset 0
		.amdhsa_system_sgpr_workgroup_id_x 1
		.amdhsa_system_sgpr_workgroup_id_y 0
		.amdhsa_system_sgpr_workgroup_id_z 0
		.amdhsa_system_sgpr_workgroup_info 0
		.amdhsa_system_vgpr_workitem_id 0
		.amdhsa_next_free_vgpr 8
		.amdhsa_next_free_sgpr 16
		.amdhsa_reserve_vcc 1
		.amdhsa_reserve_flat_scratch 0
		.amdhsa_float_round_mode_32 0
		.amdhsa_float_round_mode_16_64 0
		.amdhsa_float_denorm_mode_32 3
		.amdhsa_float_denorm_mode_16_64 3
		.amdhsa_dx10_clamp 1
		.amdhsa_ieee_mode 1
		.amdhsa_fp16_overflow 0
		.amdhsa_workgroup_processor_mode 1
		.amdhsa_memory_ordered 1
		.amdhsa_forward_progress 1
		.amdhsa_shared_vgpr_count 0
		.amdhsa_exception_fp_ieee_invalid_op 0
		.amdhsa_exception_fp_denorm_src 0
		.amdhsa_exception_fp_ieee_div_zero 0
		.amdhsa_exception_fp_ieee_overflow 0
		.amdhsa_exception_fp_ieee_underflow 0
		.amdhsa_exception_fp_ieee_inexact 0
		.amdhsa_exception_int_div_zero 0
	.end_amdhsa_kernel
	.section	.text._ZN12_GLOBAL__N_141elementwise_kernel_with_index_grid_strideIlZZZN2at6native14range_cuda_outERKN3c106ScalarES6_S6_RNS1_6TensorEENKUlvE_clEvENKUlvE2_clEvEUllE_EEvT_T0_PN15function_traitsISD_E11result_typeE,"axG",@progbits,_ZN12_GLOBAL__N_141elementwise_kernel_with_index_grid_strideIlZZZN2at6native14range_cuda_outERKN3c106ScalarES6_S6_RNS1_6TensorEENKUlvE_clEvENKUlvE2_clEvEUllE_EEvT_T0_PN15function_traitsISD_E11result_typeE,comdat
.Lfunc_end53:
	.size	_ZN12_GLOBAL__N_141elementwise_kernel_with_index_grid_strideIlZZZN2at6native14range_cuda_outERKN3c106ScalarES6_S6_RNS1_6TensorEENKUlvE_clEvENKUlvE2_clEvEUllE_EEvT_T0_PN15function_traitsISD_E11result_typeE, .Lfunc_end53-_ZN12_GLOBAL__N_141elementwise_kernel_with_index_grid_strideIlZZZN2at6native14range_cuda_outERKN3c106ScalarES6_S6_RNS1_6TensorEENKUlvE_clEvENKUlvE2_clEvEUllE_EEvT_T0_PN15function_traitsISD_E11result_typeE
                                        ; -- End function
	.set _ZN12_GLOBAL__N_141elementwise_kernel_with_index_grid_strideIlZZZN2at6native14range_cuda_outERKN3c106ScalarES6_S6_RNS1_6TensorEENKUlvE_clEvENKUlvE2_clEvEUllE_EEvT_T0_PN15function_traitsISD_E11result_typeE.num_vgpr, 8
	.set _ZN12_GLOBAL__N_141elementwise_kernel_with_index_grid_strideIlZZZN2at6native14range_cuda_outERKN3c106ScalarES6_S6_RNS1_6TensorEENKUlvE_clEvENKUlvE2_clEvEUllE_EEvT_T0_PN15function_traitsISD_E11result_typeE.num_agpr, 0
	.set _ZN12_GLOBAL__N_141elementwise_kernel_with_index_grid_strideIlZZZN2at6native14range_cuda_outERKN3c106ScalarES6_S6_RNS1_6TensorEENKUlvE_clEvENKUlvE2_clEvEUllE_EEvT_T0_PN15function_traitsISD_E11result_typeE.numbered_sgpr, 16
	.set _ZN12_GLOBAL__N_141elementwise_kernel_with_index_grid_strideIlZZZN2at6native14range_cuda_outERKN3c106ScalarES6_S6_RNS1_6TensorEENKUlvE_clEvENKUlvE2_clEvEUllE_EEvT_T0_PN15function_traitsISD_E11result_typeE.num_named_barrier, 0
	.set _ZN12_GLOBAL__N_141elementwise_kernel_with_index_grid_strideIlZZZN2at6native14range_cuda_outERKN3c106ScalarES6_S6_RNS1_6TensorEENKUlvE_clEvENKUlvE2_clEvEUllE_EEvT_T0_PN15function_traitsISD_E11result_typeE.private_seg_size, 0
	.set _ZN12_GLOBAL__N_141elementwise_kernel_with_index_grid_strideIlZZZN2at6native14range_cuda_outERKN3c106ScalarES6_S6_RNS1_6TensorEENKUlvE_clEvENKUlvE2_clEvEUllE_EEvT_T0_PN15function_traitsISD_E11result_typeE.uses_vcc, 1
	.set _ZN12_GLOBAL__N_141elementwise_kernel_with_index_grid_strideIlZZZN2at6native14range_cuda_outERKN3c106ScalarES6_S6_RNS1_6TensorEENKUlvE_clEvENKUlvE2_clEvEUllE_EEvT_T0_PN15function_traitsISD_E11result_typeE.uses_flat_scratch, 0
	.set _ZN12_GLOBAL__N_141elementwise_kernel_with_index_grid_strideIlZZZN2at6native14range_cuda_outERKN3c106ScalarES6_S6_RNS1_6TensorEENKUlvE_clEvENKUlvE2_clEvEUllE_EEvT_T0_PN15function_traitsISD_E11result_typeE.has_dyn_sized_stack, 0
	.set _ZN12_GLOBAL__N_141elementwise_kernel_with_index_grid_strideIlZZZN2at6native14range_cuda_outERKN3c106ScalarES6_S6_RNS1_6TensorEENKUlvE_clEvENKUlvE2_clEvEUllE_EEvT_T0_PN15function_traitsISD_E11result_typeE.has_recursion, 0
	.set _ZN12_GLOBAL__N_141elementwise_kernel_with_index_grid_strideIlZZZN2at6native14range_cuda_outERKN3c106ScalarES6_S6_RNS1_6TensorEENKUlvE_clEvENKUlvE2_clEvEUllE_EEvT_T0_PN15function_traitsISD_E11result_typeE.has_indirect_call, 0
	.section	.AMDGPU.csdata,"",@progbits
; Kernel info:
; codeLenInByte = 268
; TotalNumSgprs: 18
; NumVgprs: 8
; ScratchSize: 0
; MemoryBound: 0
; FloatMode: 240
; IeeeMode: 1
; LDSByteSize: 0 bytes/workgroup (compile time only)
; SGPRBlocks: 0
; VGPRBlocks: 0
; NumSGPRsForWavesPerEU: 18
; NumVGPRsForWavesPerEU: 8
; Occupancy: 16
; WaveLimiterHint : 0
; COMPUTE_PGM_RSRC2:SCRATCH_EN: 0
; COMPUTE_PGM_RSRC2:USER_SGPR: 6
; COMPUTE_PGM_RSRC2:TRAP_HANDLER: 0
; COMPUTE_PGM_RSRC2:TGID_X_EN: 1
; COMPUTE_PGM_RSRC2:TGID_Y_EN: 0
; COMPUTE_PGM_RSRC2:TGID_Z_EN: 0
; COMPUTE_PGM_RSRC2:TIDIG_COMP_CNT: 0
	.section	.text._ZN12_GLOBAL__N_141elementwise_kernel_with_index_grid_strideIiZZZN2at6native14range_cuda_outERKN3c106ScalarES6_S6_RNS1_6TensorEENKUlvE_clEvENKUlvE3_clEvEUllE_EEvT_T0_PN15function_traitsISD_E11result_typeE,"axG",@progbits,_ZN12_GLOBAL__N_141elementwise_kernel_with_index_grid_strideIiZZZN2at6native14range_cuda_outERKN3c106ScalarES6_S6_RNS1_6TensorEENKUlvE_clEvENKUlvE3_clEvEUllE_EEvT_T0_PN15function_traitsISD_E11result_typeE,comdat
	.globl	_ZN12_GLOBAL__N_141elementwise_kernel_with_index_grid_strideIiZZZN2at6native14range_cuda_outERKN3c106ScalarES6_S6_RNS1_6TensorEENKUlvE_clEvENKUlvE3_clEvEUllE_EEvT_T0_PN15function_traitsISD_E11result_typeE ; -- Begin function _ZN12_GLOBAL__N_141elementwise_kernel_with_index_grid_strideIiZZZN2at6native14range_cuda_outERKN3c106ScalarES6_S6_RNS1_6TensorEENKUlvE_clEvENKUlvE3_clEvEUllE_EEvT_T0_PN15function_traitsISD_E11result_typeE
	.p2align	8
	.type	_ZN12_GLOBAL__N_141elementwise_kernel_with_index_grid_strideIiZZZN2at6native14range_cuda_outERKN3c106ScalarES6_S6_RNS1_6TensorEENKUlvE_clEvENKUlvE3_clEvEUllE_EEvT_T0_PN15function_traitsISD_E11result_typeE,@function
_ZN12_GLOBAL__N_141elementwise_kernel_with_index_grid_strideIiZZZN2at6native14range_cuda_outERKN3c106ScalarES6_S6_RNS1_6TensorEENKUlvE_clEvENKUlvE3_clEvEUllE_EEvT_T0_PN15function_traitsISD_E11result_typeE: ; @_ZN12_GLOBAL__N_141elementwise_kernel_with_index_grid_strideIiZZZN2at6native14range_cuda_outERKN3c106ScalarES6_S6_RNS1_6TensorEENKUlvE_clEvENKUlvE3_clEvEUllE_EEvT_T0_PN15function_traitsISD_E11result_typeE
; %bb.0:
	s_clause 0x1
	s_load_dword s2, s[4:5], 0x2c
	s_load_dword s7, s[4:5], 0x0
	s_add_u32 s0, s4, 32
	s_addc_u32 s1, s5, 0
	s_waitcnt lgkmcnt(0)
	s_and_b32 s3, s2, 0xffff
	s_mov_b32 s2, exec_lo
	v_mad_u64_u32 v[1:2], null, s6, s3, v[0:1]
	v_cmpx_gt_i32_e64 s7, v1
	s_cbranch_execz .LBB54_8
; %bb.1:
	s_load_dword s0, s[0:1], 0x0
	s_clause 0x1
	s_load_dwordx4 s[8:11], s[4:5], 0x8
	s_load_dwordx2 s[4:5], s[4:5], 0x18
	s_waitcnt lgkmcnt(0)
	s_mul_i32 s2, s0, s3
	s_add_i32 s0, s6, s0
	v_cvt_f32_u32_e32 v2, s2
	s_sub_i32 s1, 0, s2
	s_mul_i32 s0, s0, s3
	s_mov_b32 s3, 0
	v_add_nc_u32_e32 v4, s0, v0
	v_rcp_iflag_f32_e32 v2, v2
	v_cmp_gt_i32_e32 vcc_lo, s7, v4
	v_max_i32_e32 v5, s7, v4
	v_add_co_ci_u32_e64 v0, null, s0, v0, vcc_lo
	v_mul_f32_e32 v2, 0x4f7ffffe, v2
	v_sub_nc_u32_e32 v0, v5, v0
	v_cvt_u32_f32_e32 v2, v2
	v_mul_lo_u32 v3, s1, v2
	s_mov_b32 s1, exec_lo
	v_mul_hi_u32 v3, v2, v3
	v_add_nc_u32_e32 v2, v2, v3
	v_mul_hi_u32 v2, v0, v2
	v_mul_lo_u32 v3, v2, s2
	v_sub_nc_u32_e32 v0, v0, v3
	v_add_nc_u32_e32 v3, 1, v2
	v_subrev_nc_u32_e32 v4, s2, v0
	v_cmp_le_u32_e64 s0, s2, v0
	v_cndmask_b32_e64 v2, v2, v3, s0
	v_cndmask_b32_e64 v0, v0, v4, s0
	v_add_nc_u32_e32 v3, 1, v2
	v_cmp_le_u32_e64 s0, s2, v0
	v_cndmask_b32_e64 v0, v2, v3, s0
	s_mov_b32 s0, -1
	v_add_co_ci_u32_e64 v0, null, 1, v0, vcc_lo
	v_cmpx_lt_u32_e32 1, v0
	s_cbranch_execz .LBB54_5
; %bb.2:
	v_add_nc_u32_e32 v2, s2, v1
	v_and_b32_e32 v4, -2, v0
	s_lshl_b32 s15, s2, 1
	s_mov_b32 s13, s10
	s_mov_b32 s14, s10
	v_mov_b32_e32 v3, v2
	v_mov_b32_e32 v5, v4
	;; [unrolled: 1-line block ×3, first 2 shown]
	s_mov_b32 s6, s8
	s_mov_b32 s12, s8
	;; [unrolled: 1-line block ×3, first 2 shown]
	.p2align	6
.LBB54_3:                               ; =>This Inner Loop Header: Depth=1
	v_ashrrev_i32_e32 v9, 31, v2
	v_mov_b32_e32 v8, v2
	v_ashrrev_i32_e32 v7, 31, v3
	v_mov_b32_e32 v6, v3
	v_add_nc_u32_e32 v5, -2, v5
	v_mad_u64_u32 v[10:11], null, s14, v3, s[12:13]
	v_lshlrev_b64 v[8:9], 1, v[8:9]
	v_lshlrev_b64 v[6:7], 1, v[6:7]
	v_mad_u64_u32 v[11:12], null, s13, v2, s[6:7]
	v_cmp_eq_u32_e32 vcc_lo, 0, v5
	v_add_nc_u32_e32 v3, s16, v3
	v_add_co_u32 v8, s0, s4, v8
	v_add_co_ci_u32_e64 v9, null, s5, v9, s0
	v_add_co_u32 v6, s0, s4, v6
	v_add_nc_u32_e32 v2, s15, v2
	v_add_co_ci_u32_e64 v7, null, s5, v7, s0
	s_or_b32 s3, vcc_lo, s3
	global_store_short v[8:9], v11, off
	global_store_short v[6:7], v10, off
	s_andn2_b32 exec_lo, exec_lo, s3
	s_cbranch_execnz .LBB54_3
; %bb.4:
	s_or_b32 exec_lo, exec_lo, s3
	v_mad_u64_u32 v[1:2], null, v4, s2, v[1:2]
	v_cmp_ne_u32_e32 vcc_lo, v0, v4
	s_orn2_b32 s0, vcc_lo, exec_lo
.LBB54_5:
	s_or_b32 exec_lo, exec_lo, s1
	s_and_b32 exec_lo, exec_lo, s0
	s_cbranch_execz .LBB54_8
; %bb.6:
	v_ashrrev_i32_e32 v2, 31, v1
	v_mad_u64_u32 v[3:4], null, s10, v1, s[8:9]
	v_mul_lo_u32 v0, s11, v1
	s_ashr_i32 s3, s2, 31
	v_lshlrev_b64 v[5:6], 1, v[1:2]
	v_mul_lo_u32 v2, s10, v2
	s_mul_hi_u32 s0, s10, s2
	s_mul_i32 s1, s10, s3
	s_mov_b32 s6, 0
	s_add_i32 s0, s0, s1
	v_add_co_u32 v5, vcc_lo, s4, v5
	v_add_co_ci_u32_e64 v6, null, s5, v6, vcc_lo
	v_add3_u32 v4, v0, v4, v2
	s_mul_i32 s1, s11, s2
	s_lshl_b64 s[4:5], s[2:3], 1
	s_add_i32 s1, s0, s1
	s_mul_i32 s3, s10, s2
.LBB54_7:                               ; =>This Inner Loop Header: Depth=1
	v_add_nc_u32_e32 v1, s2, v1
	global_store_short v[5:6], v3, off
	v_add_co_u32 v5, vcc_lo, v5, s4
	v_add_co_ci_u32_e64 v6, null, s5, v6, vcc_lo
	v_cmp_le_i32_e32 vcc_lo, s7, v1
	v_add_co_u32 v3, s0, v3, s3
	v_add_co_ci_u32_e64 v4, null, s1, v4, s0
	s_or_b32 s6, vcc_lo, s6
	s_andn2_b32 exec_lo, exec_lo, s6
	s_cbranch_execnz .LBB54_7
.LBB54_8:
	s_endpgm
	.section	.rodata,"a",@progbits
	.p2align	6, 0x0
	.amdhsa_kernel _ZN12_GLOBAL__N_141elementwise_kernel_with_index_grid_strideIiZZZN2at6native14range_cuda_outERKN3c106ScalarES6_S6_RNS1_6TensorEENKUlvE_clEvENKUlvE3_clEvEUllE_EEvT_T0_PN15function_traitsISD_E11result_typeE
		.amdhsa_group_segment_fixed_size 0
		.amdhsa_private_segment_fixed_size 0
		.amdhsa_kernarg_size 288
		.amdhsa_user_sgpr_count 6
		.amdhsa_user_sgpr_private_segment_buffer 1
		.amdhsa_user_sgpr_dispatch_ptr 0
		.amdhsa_user_sgpr_queue_ptr 0
		.amdhsa_user_sgpr_kernarg_segment_ptr 1
		.amdhsa_user_sgpr_dispatch_id 0
		.amdhsa_user_sgpr_flat_scratch_init 0
		.amdhsa_user_sgpr_private_segment_size 0
		.amdhsa_wavefront_size32 1
		.amdhsa_uses_dynamic_stack 0
		.amdhsa_system_sgpr_private_segment_wavefront_offset 0
		.amdhsa_system_sgpr_workgroup_id_x 1
		.amdhsa_system_sgpr_workgroup_id_y 0
		.amdhsa_system_sgpr_workgroup_id_z 0
		.amdhsa_system_sgpr_workgroup_info 0
		.amdhsa_system_vgpr_workitem_id 0
		.amdhsa_next_free_vgpr 13
		.amdhsa_next_free_sgpr 17
		.amdhsa_reserve_vcc 1
		.amdhsa_reserve_flat_scratch 0
		.amdhsa_float_round_mode_32 0
		.amdhsa_float_round_mode_16_64 0
		.amdhsa_float_denorm_mode_32 3
		.amdhsa_float_denorm_mode_16_64 3
		.amdhsa_dx10_clamp 1
		.amdhsa_ieee_mode 1
		.amdhsa_fp16_overflow 0
		.amdhsa_workgroup_processor_mode 1
		.amdhsa_memory_ordered 1
		.amdhsa_forward_progress 1
		.amdhsa_shared_vgpr_count 0
		.amdhsa_exception_fp_ieee_invalid_op 0
		.amdhsa_exception_fp_denorm_src 0
		.amdhsa_exception_fp_ieee_div_zero 0
		.amdhsa_exception_fp_ieee_overflow 0
		.amdhsa_exception_fp_ieee_underflow 0
		.amdhsa_exception_fp_ieee_inexact 0
		.amdhsa_exception_int_div_zero 0
	.end_amdhsa_kernel
	.section	.text._ZN12_GLOBAL__N_141elementwise_kernel_with_index_grid_strideIiZZZN2at6native14range_cuda_outERKN3c106ScalarES6_S6_RNS1_6TensorEENKUlvE_clEvENKUlvE3_clEvEUllE_EEvT_T0_PN15function_traitsISD_E11result_typeE,"axG",@progbits,_ZN12_GLOBAL__N_141elementwise_kernel_with_index_grid_strideIiZZZN2at6native14range_cuda_outERKN3c106ScalarES6_S6_RNS1_6TensorEENKUlvE_clEvENKUlvE3_clEvEUllE_EEvT_T0_PN15function_traitsISD_E11result_typeE,comdat
.Lfunc_end54:
	.size	_ZN12_GLOBAL__N_141elementwise_kernel_with_index_grid_strideIiZZZN2at6native14range_cuda_outERKN3c106ScalarES6_S6_RNS1_6TensorEENKUlvE_clEvENKUlvE3_clEvEUllE_EEvT_T0_PN15function_traitsISD_E11result_typeE, .Lfunc_end54-_ZN12_GLOBAL__N_141elementwise_kernel_with_index_grid_strideIiZZZN2at6native14range_cuda_outERKN3c106ScalarES6_S6_RNS1_6TensorEENKUlvE_clEvENKUlvE3_clEvEUllE_EEvT_T0_PN15function_traitsISD_E11result_typeE
                                        ; -- End function
	.set _ZN12_GLOBAL__N_141elementwise_kernel_with_index_grid_strideIiZZZN2at6native14range_cuda_outERKN3c106ScalarES6_S6_RNS1_6TensorEENKUlvE_clEvENKUlvE3_clEvEUllE_EEvT_T0_PN15function_traitsISD_E11result_typeE.num_vgpr, 13
	.set _ZN12_GLOBAL__N_141elementwise_kernel_with_index_grid_strideIiZZZN2at6native14range_cuda_outERKN3c106ScalarES6_S6_RNS1_6TensorEENKUlvE_clEvENKUlvE3_clEvEUllE_EEvT_T0_PN15function_traitsISD_E11result_typeE.num_agpr, 0
	.set _ZN12_GLOBAL__N_141elementwise_kernel_with_index_grid_strideIiZZZN2at6native14range_cuda_outERKN3c106ScalarES6_S6_RNS1_6TensorEENKUlvE_clEvENKUlvE3_clEvEUllE_EEvT_T0_PN15function_traitsISD_E11result_typeE.numbered_sgpr, 17
	.set _ZN12_GLOBAL__N_141elementwise_kernel_with_index_grid_strideIiZZZN2at6native14range_cuda_outERKN3c106ScalarES6_S6_RNS1_6TensorEENKUlvE_clEvENKUlvE3_clEvEUllE_EEvT_T0_PN15function_traitsISD_E11result_typeE.num_named_barrier, 0
	.set _ZN12_GLOBAL__N_141elementwise_kernel_with_index_grid_strideIiZZZN2at6native14range_cuda_outERKN3c106ScalarES6_S6_RNS1_6TensorEENKUlvE_clEvENKUlvE3_clEvEUllE_EEvT_T0_PN15function_traitsISD_E11result_typeE.private_seg_size, 0
	.set _ZN12_GLOBAL__N_141elementwise_kernel_with_index_grid_strideIiZZZN2at6native14range_cuda_outERKN3c106ScalarES6_S6_RNS1_6TensorEENKUlvE_clEvENKUlvE3_clEvEUllE_EEvT_T0_PN15function_traitsISD_E11result_typeE.uses_vcc, 1
	.set _ZN12_GLOBAL__N_141elementwise_kernel_with_index_grid_strideIiZZZN2at6native14range_cuda_outERKN3c106ScalarES6_S6_RNS1_6TensorEENKUlvE_clEvENKUlvE3_clEvEUllE_EEvT_T0_PN15function_traitsISD_E11result_typeE.uses_flat_scratch, 0
	.set _ZN12_GLOBAL__N_141elementwise_kernel_with_index_grid_strideIiZZZN2at6native14range_cuda_outERKN3c106ScalarES6_S6_RNS1_6TensorEENKUlvE_clEvENKUlvE3_clEvEUllE_EEvT_T0_PN15function_traitsISD_E11result_typeE.has_dyn_sized_stack, 0
	.set _ZN12_GLOBAL__N_141elementwise_kernel_with_index_grid_strideIiZZZN2at6native14range_cuda_outERKN3c106ScalarES6_S6_RNS1_6TensorEENKUlvE_clEvENKUlvE3_clEvEUllE_EEvT_T0_PN15function_traitsISD_E11result_typeE.has_recursion, 0
	.set _ZN12_GLOBAL__N_141elementwise_kernel_with_index_grid_strideIiZZZN2at6native14range_cuda_outERKN3c106ScalarES6_S6_RNS1_6TensorEENKUlvE_clEvENKUlvE3_clEvEUllE_EEvT_T0_PN15function_traitsISD_E11result_typeE.has_indirect_call, 0
	.section	.AMDGPU.csdata,"",@progbits
; Kernel info:
; codeLenInByte = 636
; TotalNumSgprs: 19
; NumVgprs: 13
; ScratchSize: 0
; MemoryBound: 0
; FloatMode: 240
; IeeeMode: 1
; LDSByteSize: 0 bytes/workgroup (compile time only)
; SGPRBlocks: 0
; VGPRBlocks: 1
; NumSGPRsForWavesPerEU: 19
; NumVGPRsForWavesPerEU: 13
; Occupancy: 16
; WaveLimiterHint : 0
; COMPUTE_PGM_RSRC2:SCRATCH_EN: 0
; COMPUTE_PGM_RSRC2:USER_SGPR: 6
; COMPUTE_PGM_RSRC2:TRAP_HANDLER: 0
; COMPUTE_PGM_RSRC2:TGID_X_EN: 1
; COMPUTE_PGM_RSRC2:TGID_Y_EN: 0
; COMPUTE_PGM_RSRC2:TGID_Z_EN: 0
; COMPUTE_PGM_RSRC2:TIDIG_COMP_CNT: 0
	.section	.text._ZN12_GLOBAL__N_141elementwise_kernel_with_index_grid_strideIlZZZN2at6native14range_cuda_outERKN3c106ScalarES6_S6_RNS1_6TensorEENKUlvE_clEvENKUlvE3_clEvEUllE_EEvT_T0_PN15function_traitsISD_E11result_typeE,"axG",@progbits,_ZN12_GLOBAL__N_141elementwise_kernel_with_index_grid_strideIlZZZN2at6native14range_cuda_outERKN3c106ScalarES6_S6_RNS1_6TensorEENKUlvE_clEvENKUlvE3_clEvEUllE_EEvT_T0_PN15function_traitsISD_E11result_typeE,comdat
	.globl	_ZN12_GLOBAL__N_141elementwise_kernel_with_index_grid_strideIlZZZN2at6native14range_cuda_outERKN3c106ScalarES6_S6_RNS1_6TensorEENKUlvE_clEvENKUlvE3_clEvEUllE_EEvT_T0_PN15function_traitsISD_E11result_typeE ; -- Begin function _ZN12_GLOBAL__N_141elementwise_kernel_with_index_grid_strideIlZZZN2at6native14range_cuda_outERKN3c106ScalarES6_S6_RNS1_6TensorEENKUlvE_clEvENKUlvE3_clEvEUllE_EEvT_T0_PN15function_traitsISD_E11result_typeE
	.p2align	8
	.type	_ZN12_GLOBAL__N_141elementwise_kernel_with_index_grid_strideIlZZZN2at6native14range_cuda_outERKN3c106ScalarES6_S6_RNS1_6TensorEENKUlvE_clEvENKUlvE3_clEvEUllE_EEvT_T0_PN15function_traitsISD_E11result_typeE,@function
_ZN12_GLOBAL__N_141elementwise_kernel_with_index_grid_strideIlZZZN2at6native14range_cuda_outERKN3c106ScalarES6_S6_RNS1_6TensorEENKUlvE_clEvENKUlvE3_clEvEUllE_EEvT_T0_PN15function_traitsISD_E11result_typeE: ; @_ZN12_GLOBAL__N_141elementwise_kernel_with_index_grid_strideIlZZZN2at6native14range_cuda_outERKN3c106ScalarES6_S6_RNS1_6TensorEENKUlvE_clEvENKUlvE3_clEvEUllE_EEvT_T0_PN15function_traitsISD_E11result_typeE
; %bb.0:
	s_clause 0x1
	s_load_dword s2, s[4:5], 0x2c
	s_load_dwordx8 s[8:15], s[4:5], 0x0
	v_mov_b32_e32 v1, 0
	s_add_u32 s0, s4, 32
	s_addc_u32 s1, s5, 0
	s_waitcnt lgkmcnt(0)
	s_and_b32 s7, s2, 0xffff
	s_mov_b32 s2, exec_lo
	v_mad_u64_u32 v[2:3], null, s7, s6, v[0:1]
	v_cmpx_gt_i64_e64 s[8:9], v[2:3]
	s_cbranch_execz .LBB55_14
; %bb.1:
	s_load_dword s1, s[0:1], 0x0
	s_waitcnt lgkmcnt(0)
	s_add_u32 s0, s6, s1
	s_mul_hi_u32 s3, s7, s1
	v_mad_u64_u32 v[5:6], null, s0, s7, v[0:1]
	s_addc_u32 s0, 0, 0
	s_mul_i32 s2, s7, s1
	v_mov_b32_e32 v0, v6
	v_mad_u64_u32 v[7:8], null, s0, s7, v[0:1]
	s_mov_b32 s0, exec_lo
	v_mov_b32_e32 v6, v7
	v_cmp_gt_i64_e32 vcc_lo, s[8:9], v[5:6]
	v_cndmask_b32_e64 v4, 0, 1, vcc_lo
	v_cndmask_b32_e64 v0, v7, s9, vcc_lo
	;; [unrolled: 1-line block ×3, first 2 shown]
	v_add_co_u32 v5, vcc_lo, v5, v4
	v_add_co_ci_u32_e64 v7, null, 0, v7, vcc_lo
	v_sub_co_u32 v5, vcc_lo, v6, v5
	v_sub_co_ci_u32_e64 v6, null, v0, v7, vcc_lo
	v_mov_b32_e32 v7, v1
                                        ; implicit-def: $vgpr0_vgpr1
	v_or_b32_e32 v8, s3, v6
	v_cmpx_ne_u64_e32 0, v[7:8]
	s_xor_b32 s4, exec_lo, s0
	s_cbranch_execz .LBB55_3
; %bb.2:
	v_cvt_f32_u32_e32 v0, s2
	v_cvt_f32_u32_e32 v1, s3
	s_sub_u32 s6, 0, s2
	s_subb_u32 s16, 0, s3
	v_fmamk_f32 v0, v1, 0x4f800000, v0
	v_rcp_f32_e32 v0, v0
	v_mul_f32_e32 v0, 0x5f7ffffc, v0
	v_mul_f32_e32 v1, 0x2f800000, v0
	v_trunc_f32_e32 v1, v1
	v_fmamk_f32 v0, v1, 0xcf800000, v0
	v_cvt_u32_f32_e32 v1, v1
	v_cvt_u32_f32_e32 v0, v0
	v_readfirstlane_b32 s0, v1
	v_readfirstlane_b32 s5, v0
	s_mul_i32 s17, s6, s0
	s_mul_hi_u32 s19, s6, s5
	s_mul_i32 s18, s16, s5
	s_add_i32 s17, s19, s17
	s_mul_i32 s20, s6, s5
	s_add_i32 s17, s17, s18
	s_mul_hi_u32 s19, s5, s20
	s_mul_i32 s22, s5, s17
	s_mul_hi_u32 s21, s0, s20
	s_mul_i32 s18, s0, s20
	s_mul_hi_u32 s20, s5, s17
	s_add_u32 s19, s19, s22
	s_addc_u32 s20, 0, s20
	s_mul_hi_u32 s23, s0, s17
	s_add_u32 s18, s19, s18
	s_mul_i32 s17, s0, s17
	s_addc_u32 s18, s20, s21
	s_addc_u32 s19, s23, 0
	s_add_u32 s17, s18, s17
	s_addc_u32 s18, 0, s19
	s_add_u32 s5, s5, s17
	s_cselect_b32 s17, -1, 0
	s_mul_hi_u32 s19, s6, s5
	s_cmp_lg_u32 s17, 0
	s_mul_i32 s17, s6, s5
	s_addc_u32 s0, s0, s18
	s_mul_i32 s16, s16, s5
	s_mul_i32 s6, s6, s0
	s_mul_hi_u32 s18, s5, s17
	s_add_i32 s6, s19, s6
	s_mul_hi_u32 s19, s0, s17
	s_add_i32 s6, s6, s16
	s_mul_i32 s16, s0, s17
	s_mul_i32 s21, s5, s6
	s_mul_hi_u32 s20, s5, s6
	s_add_u32 s18, s18, s21
	s_addc_u32 s20, 0, s20
	s_mul_hi_u32 s17, s0, s6
	s_add_u32 s16, s18, s16
	s_mul_i32 s6, s0, s6
	s_addc_u32 s16, s20, s19
	s_addc_u32 s17, s17, 0
	s_add_u32 s6, s16, s6
	s_addc_u32 s16, 0, s17
	s_add_u32 s5, s5, s6
	s_cselect_b32 s6, -1, 0
	v_mul_hi_u32 v11, v5, s5
	s_cmp_lg_u32 s6, 0
	v_mad_u64_u32 v[7:8], null, v6, s5, 0
	s_addc_u32 s0, s0, s16
	v_mad_u64_u32 v[0:1], null, v5, s0, 0
	v_mad_u64_u32 v[9:10], null, v6, s0, 0
	v_add_co_u32 v0, vcc_lo, v11, v0
	v_add_co_ci_u32_e64 v1, null, 0, v1, vcc_lo
	v_add_co_u32 v0, vcc_lo, v0, v7
	v_add_co_ci_u32_e32 v0, vcc_lo, v1, v8, vcc_lo
	v_add_co_ci_u32_e32 v1, vcc_lo, 0, v10, vcc_lo
	v_add_co_u32 v7, vcc_lo, v0, v9
	v_add_co_ci_u32_e64 v8, null, 0, v1, vcc_lo
	v_mul_lo_u32 v9, s3, v7
	v_mad_u64_u32 v[0:1], null, s2, v7, 0
	v_mul_lo_u32 v10, s2, v8
	v_sub_co_u32 v0, vcc_lo, v5, v0
	v_add3_u32 v1, v1, v10, v9
	v_sub_nc_u32_e32 v9, v6, v1
	v_sub_co_ci_u32_e64 v1, null, v6, v1, vcc_lo
	v_subrev_co_ci_u32_e64 v5, null, s3, v9, vcc_lo
	v_add_co_u32 v9, s0, v7, 2
	v_add_co_ci_u32_e64 v10, null, 0, v8, s0
	v_sub_co_u32 v11, s0, v0, s2
	v_subrev_co_ci_u32_e64 v5, null, 0, v5, s0
	v_cmp_eq_u32_e64 s0, s3, v1
	v_cmp_le_u32_e32 vcc_lo, s2, v11
	v_cndmask_b32_e64 v6, 0, -1, vcc_lo
	v_cmp_le_u32_e32 vcc_lo, s3, v5
	v_cndmask_b32_e64 v11, 0, -1, vcc_lo
	;; [unrolled: 2-line block ×4, first 2 shown]
	v_cmp_eq_u32_e32 vcc_lo, s3, v5
	v_cndmask_b32_e64 v0, v12, v0, s0
	v_cndmask_b32_e32 v5, v11, v6, vcc_lo
	v_add_co_u32 v6, vcc_lo, v7, 1
	v_add_co_ci_u32_e64 v11, null, 0, v8, vcc_lo
	v_cmp_ne_u32_e32 vcc_lo, 0, v5
	v_cndmask_b32_e32 v1, v11, v10, vcc_lo
	v_cndmask_b32_e32 v5, v6, v9, vcc_lo
	v_cmp_ne_u32_e32 vcc_lo, 0, v0
	v_cndmask_b32_e32 v1, v8, v1, vcc_lo
	v_cndmask_b32_e32 v0, v7, v5, vcc_lo
                                        ; implicit-def: $vgpr5
.LBB55_3:
	s_andn2_saveexec_b32 s0, s4
	s_cbranch_execz .LBB55_5
; %bb.4:
	v_cvt_f32_u32_e32 v0, s2
	s_sub_i32 s4, 0, s2
	v_rcp_iflag_f32_e32 v0, v0
	v_mul_f32_e32 v0, 0x4f7ffffe, v0
	v_cvt_u32_f32_e32 v0, v0
	v_mul_lo_u32 v1, s4, v0
	v_mul_hi_u32 v1, v0, v1
	v_add_nc_u32_e32 v0, v0, v1
	v_mul_hi_u32 v0, v5, v0
	v_mul_lo_u32 v1, v0, s2
	v_sub_nc_u32_e32 v1, v5, v1
	v_add_nc_u32_e32 v5, 1, v0
	v_subrev_nc_u32_e32 v6, s2, v1
	v_cmp_le_u32_e32 vcc_lo, s2, v1
	v_cndmask_b32_e32 v1, v1, v6, vcc_lo
	v_cndmask_b32_e32 v0, v0, v5, vcc_lo
	v_cmp_le_u32_e32 vcc_lo, s2, v1
	v_add_nc_u32_e32 v5, 1, v0
	v_mov_b32_e32 v1, 0
	v_cndmask_b32_e32 v0, v0, v5, vcc_lo
.LBB55_5:
	s_or_b32 exec_lo, exec_lo, s0
	v_add_co_u32 v0, vcc_lo, v0, v4
	v_add_co_ci_u32_e64 v1, null, 0, v1, vcc_lo
	s_mov_b32 s0, 0
	v_add_co_u32 v0, vcc_lo, v0, 1
	v_add_co_ci_u32_e64 v1, null, 0, v1, vcc_lo
                                        ; implicit-def: $vgpr4_vgpr5
	s_mov_b32 s4, exec_lo
	v_cmpx_lt_u64_e32 1, v[0:1]
	s_xor_b32 s17, exec_lo, s4
	s_cbranch_execnz .LBB55_8
; %bb.6:
	s_andn2_saveexec_b32 s4, s17
	s_cbranch_execnz .LBB55_11
.LBB55_7:
	s_or_b32 exec_lo, exec_lo, s4
	s_and_b32 exec_lo, exec_lo, s0
	s_cbranch_execnz .LBB55_12
	s_branch .LBB55_14
.LBB55_8:
	v_lshlrev_b64 v[6:7], 1, v[2:3]
	v_add_co_u32 v4, vcc_lo, v2, s2
	v_mov_b32_e32 v9, v1
	v_add_co_ci_u32_e64 v5, null, s3, v3, vcc_lo
	v_and_b32_e32 v8, -2, v0
	v_add_co_u32 v10, vcc_lo, s14, v6
	v_add_co_ci_u32_e64 v11, null, s15, v7, vcc_lo
	v_mov_b32_e32 v13, v9
	v_mov_b32_e32 v7, v5
	;; [unrolled: 1-line block ×6, first 2 shown]
	s_lshl_b64 s[4:5], s[2:3], 1
	s_mov_b32 s20, s12
	s_mov_b32 s21, s12
	;; [unrolled: 1-line block ×6, first 2 shown]
	s_lshl_b64 s[18:19], s[2:3], 2
	s_mov_b32 s24, 0
	.p2align	6
.LBB55_9:                               ; =>This Inner Loop Header: Depth=1
	v_mad_u64_u32 v[14:15], null, v6, s21, s[16:17]
	v_mad_u64_u32 v[15:16], null, v4, s20, s[6:7]
	v_add_co_u32 v16, vcc_lo, v10, s4
	v_add_co_ci_u32_e64 v17, null, s5, v11, vcc_lo
	v_add_co_u32 v6, vcc_lo, v6, s22
	v_add_co_ci_u32_e64 v7, null, s23, v7, vcc_lo
	v_add_co_u32 v12, vcc_lo, v12, -2
	v_add_co_ci_u32_e64 v13, null, -1, v13, vcc_lo
	v_add_co_u32 v4, vcc_lo, v4, s4
	v_add_co_ci_u32_e64 v5, null, s5, v5, vcc_lo
	v_cmp_eq_u64_e32 vcc_lo, 0, v[12:13]
	global_store_short v[10:11], v15, off
	v_add_co_u32 v10, s0, v10, s18
	v_add_co_ci_u32_e64 v11, null, s19, v11, s0
	s_or_b32 s24, vcc_lo, s24
	global_store_short v[16:17], v14, off
	s_andn2_b32 exec_lo, exec_lo, s24
	s_cbranch_execnz .LBB55_9
; %bb.10:
	s_or_b32 exec_lo, exec_lo, s24
	v_mad_u64_u32 v[2:3], null, v8, s2, v[2:3]
	v_mul_lo_u32 v4, v8, s3
	v_mul_lo_u32 v5, v9, s2
	v_cmp_ne_u64_e32 vcc_lo, v[0:1], v[8:9]
	s_and_b32 s0, vcc_lo, exec_lo
	v_add3_u32 v3, v5, v3, v4
	v_mov_b32_e32 v4, s4
	v_mov_b32_e32 v5, s5
	s_andn2_saveexec_b32 s4, s17
	s_cbranch_execz .LBB55_7
.LBB55_11:
	s_lshl_b64 s[16:17], s[2:3], 1
	s_or_b32 s0, s0, exec_lo
	v_mov_b32_e32 v4, s16
	v_mov_b32_e32 v5, s17
	s_or_b32 exec_lo, exec_lo, s4
	s_and_b32 exec_lo, exec_lo, s0
	s_cbranch_execz .LBB55_14
.LBB55_12:
	v_mad_u64_u32 v[0:1], null, v2, s12, s[10:11]
	v_mul_lo_u32 v8, v2, s13
	v_mul_lo_u32 v9, v3, s12
	v_lshlrev_b64 v[6:7], 1, v[2:3]
	s_mul_i32 s0, s13, s7
	s_mul_hi_u32 s4, s12, s7
	s_mul_i32 s5, s12, s7
	s_add_i32 s0, s4, s0
	s_mul_hi_u32 s4, s5, s1
	v_add_co_u32 v6, vcc_lo, s14, v6
	v_add3_u32 v1, v9, v1, v8
	v_add_co_ci_u32_e64 v7, null, s15, v7, vcc_lo
	s_mul_i32 s0, s0, s1
	s_mul_i32 s1, s5, s1
	s_add_i32 s4, s4, s0
	s_mov_b32 s5, 0
	.p2align	6
.LBB55_13:                              ; =>This Inner Loop Header: Depth=1
	v_add_co_u32 v2, vcc_lo, v2, s2
	v_add_co_ci_u32_e64 v3, null, s3, v3, vcc_lo
	global_store_short v[6:7], v0, off
	v_add_co_u32 v0, vcc_lo, v0, s1
	v_add_co_ci_u32_e64 v1, null, s4, v1, vcc_lo
	v_cmp_le_i64_e32 vcc_lo, s[8:9], v[2:3]
	v_add_co_u32 v6, s0, v6, v4
	v_add_co_ci_u32_e64 v7, null, v7, v5, s0
	s_or_b32 s5, vcc_lo, s5
	s_andn2_b32 exec_lo, exec_lo, s5
	s_cbranch_execnz .LBB55_13
.LBB55_14:
	s_endpgm
	.section	.rodata,"a",@progbits
	.p2align	6, 0x0
	.amdhsa_kernel _ZN12_GLOBAL__N_141elementwise_kernel_with_index_grid_strideIlZZZN2at6native14range_cuda_outERKN3c106ScalarES6_S6_RNS1_6TensorEENKUlvE_clEvENKUlvE3_clEvEUllE_EEvT_T0_PN15function_traitsISD_E11result_typeE
		.amdhsa_group_segment_fixed_size 0
		.amdhsa_private_segment_fixed_size 0
		.amdhsa_kernarg_size 288
		.amdhsa_user_sgpr_count 6
		.amdhsa_user_sgpr_private_segment_buffer 1
		.amdhsa_user_sgpr_dispatch_ptr 0
		.amdhsa_user_sgpr_queue_ptr 0
		.amdhsa_user_sgpr_kernarg_segment_ptr 1
		.amdhsa_user_sgpr_dispatch_id 0
		.amdhsa_user_sgpr_flat_scratch_init 0
		.amdhsa_user_sgpr_private_segment_size 0
		.amdhsa_wavefront_size32 1
		.amdhsa_uses_dynamic_stack 0
		.amdhsa_system_sgpr_private_segment_wavefront_offset 0
		.amdhsa_system_sgpr_workgroup_id_x 1
		.amdhsa_system_sgpr_workgroup_id_y 0
		.amdhsa_system_sgpr_workgroup_id_z 0
		.amdhsa_system_sgpr_workgroup_info 0
		.amdhsa_system_vgpr_workitem_id 0
		.amdhsa_next_free_vgpr 18
		.amdhsa_next_free_sgpr 25
		.amdhsa_reserve_vcc 1
		.amdhsa_reserve_flat_scratch 0
		.amdhsa_float_round_mode_32 0
		.amdhsa_float_round_mode_16_64 0
		.amdhsa_float_denorm_mode_32 3
		.amdhsa_float_denorm_mode_16_64 3
		.amdhsa_dx10_clamp 1
		.amdhsa_ieee_mode 1
		.amdhsa_fp16_overflow 0
		.amdhsa_workgroup_processor_mode 1
		.amdhsa_memory_ordered 1
		.amdhsa_forward_progress 1
		.amdhsa_shared_vgpr_count 0
		.amdhsa_exception_fp_ieee_invalid_op 0
		.amdhsa_exception_fp_denorm_src 0
		.amdhsa_exception_fp_ieee_div_zero 0
		.amdhsa_exception_fp_ieee_overflow 0
		.amdhsa_exception_fp_ieee_underflow 0
		.amdhsa_exception_fp_ieee_inexact 0
		.amdhsa_exception_int_div_zero 0
	.end_amdhsa_kernel
	.section	.text._ZN12_GLOBAL__N_141elementwise_kernel_with_index_grid_strideIlZZZN2at6native14range_cuda_outERKN3c106ScalarES6_S6_RNS1_6TensorEENKUlvE_clEvENKUlvE3_clEvEUllE_EEvT_T0_PN15function_traitsISD_E11result_typeE,"axG",@progbits,_ZN12_GLOBAL__N_141elementwise_kernel_with_index_grid_strideIlZZZN2at6native14range_cuda_outERKN3c106ScalarES6_S6_RNS1_6TensorEENKUlvE_clEvENKUlvE3_clEvEUllE_EEvT_T0_PN15function_traitsISD_E11result_typeE,comdat
.Lfunc_end55:
	.size	_ZN12_GLOBAL__N_141elementwise_kernel_with_index_grid_strideIlZZZN2at6native14range_cuda_outERKN3c106ScalarES6_S6_RNS1_6TensorEENKUlvE_clEvENKUlvE3_clEvEUllE_EEvT_T0_PN15function_traitsISD_E11result_typeE, .Lfunc_end55-_ZN12_GLOBAL__N_141elementwise_kernel_with_index_grid_strideIlZZZN2at6native14range_cuda_outERKN3c106ScalarES6_S6_RNS1_6TensorEENKUlvE_clEvENKUlvE3_clEvEUllE_EEvT_T0_PN15function_traitsISD_E11result_typeE
                                        ; -- End function
	.set _ZN12_GLOBAL__N_141elementwise_kernel_with_index_grid_strideIlZZZN2at6native14range_cuda_outERKN3c106ScalarES6_S6_RNS1_6TensorEENKUlvE_clEvENKUlvE3_clEvEUllE_EEvT_T0_PN15function_traitsISD_E11result_typeE.num_vgpr, 18
	.set _ZN12_GLOBAL__N_141elementwise_kernel_with_index_grid_strideIlZZZN2at6native14range_cuda_outERKN3c106ScalarES6_S6_RNS1_6TensorEENKUlvE_clEvENKUlvE3_clEvEUllE_EEvT_T0_PN15function_traitsISD_E11result_typeE.num_agpr, 0
	.set _ZN12_GLOBAL__N_141elementwise_kernel_with_index_grid_strideIlZZZN2at6native14range_cuda_outERKN3c106ScalarES6_S6_RNS1_6TensorEENKUlvE_clEvENKUlvE3_clEvEUllE_EEvT_T0_PN15function_traitsISD_E11result_typeE.numbered_sgpr, 25
	.set _ZN12_GLOBAL__N_141elementwise_kernel_with_index_grid_strideIlZZZN2at6native14range_cuda_outERKN3c106ScalarES6_S6_RNS1_6TensorEENKUlvE_clEvENKUlvE3_clEvEUllE_EEvT_T0_PN15function_traitsISD_E11result_typeE.num_named_barrier, 0
	.set _ZN12_GLOBAL__N_141elementwise_kernel_with_index_grid_strideIlZZZN2at6native14range_cuda_outERKN3c106ScalarES6_S6_RNS1_6TensorEENKUlvE_clEvENKUlvE3_clEvEUllE_EEvT_T0_PN15function_traitsISD_E11result_typeE.private_seg_size, 0
	.set _ZN12_GLOBAL__N_141elementwise_kernel_with_index_grid_strideIlZZZN2at6native14range_cuda_outERKN3c106ScalarES6_S6_RNS1_6TensorEENKUlvE_clEvENKUlvE3_clEvEUllE_EEvT_T0_PN15function_traitsISD_E11result_typeE.uses_vcc, 1
	.set _ZN12_GLOBAL__N_141elementwise_kernel_with_index_grid_strideIlZZZN2at6native14range_cuda_outERKN3c106ScalarES6_S6_RNS1_6TensorEENKUlvE_clEvENKUlvE3_clEvEUllE_EEvT_T0_PN15function_traitsISD_E11result_typeE.uses_flat_scratch, 0
	.set _ZN12_GLOBAL__N_141elementwise_kernel_with_index_grid_strideIlZZZN2at6native14range_cuda_outERKN3c106ScalarES6_S6_RNS1_6TensorEENKUlvE_clEvENKUlvE3_clEvEUllE_EEvT_T0_PN15function_traitsISD_E11result_typeE.has_dyn_sized_stack, 0
	.set _ZN12_GLOBAL__N_141elementwise_kernel_with_index_grid_strideIlZZZN2at6native14range_cuda_outERKN3c106ScalarES6_S6_RNS1_6TensorEENKUlvE_clEvENKUlvE3_clEvEUllE_EEvT_T0_PN15function_traitsISD_E11result_typeE.has_recursion, 0
	.set _ZN12_GLOBAL__N_141elementwise_kernel_with_index_grid_strideIlZZZN2at6native14range_cuda_outERKN3c106ScalarES6_S6_RNS1_6TensorEENKUlvE_clEvENKUlvE3_clEvEUllE_EEvT_T0_PN15function_traitsISD_E11result_typeE.has_indirect_call, 0
	.section	.AMDGPU.csdata,"",@progbits
; Kernel info:
; codeLenInByte = 1484
; TotalNumSgprs: 27
; NumVgprs: 18
; ScratchSize: 0
; MemoryBound: 0
; FloatMode: 240
; IeeeMode: 1
; LDSByteSize: 0 bytes/workgroup (compile time only)
; SGPRBlocks: 0
; VGPRBlocks: 2
; NumSGPRsForWavesPerEU: 27
; NumVGPRsForWavesPerEU: 18
; Occupancy: 16
; WaveLimiterHint : 0
; COMPUTE_PGM_RSRC2:SCRATCH_EN: 0
; COMPUTE_PGM_RSRC2:USER_SGPR: 6
; COMPUTE_PGM_RSRC2:TRAP_HANDLER: 0
; COMPUTE_PGM_RSRC2:TGID_X_EN: 1
; COMPUTE_PGM_RSRC2:TGID_Y_EN: 0
; COMPUTE_PGM_RSRC2:TGID_Z_EN: 0
; COMPUTE_PGM_RSRC2:TIDIG_COMP_CNT: 0
	.section	.text._ZN12_GLOBAL__N_141elementwise_kernel_with_index_grid_strideIiZZZN2at6native14range_cuda_outERKN3c106ScalarES6_S6_RNS1_6TensorEENKUlvE_clEvENKUlvE4_clEvEUllE_EEvT_T0_PN15function_traitsISD_E11result_typeE,"axG",@progbits,_ZN12_GLOBAL__N_141elementwise_kernel_with_index_grid_strideIiZZZN2at6native14range_cuda_outERKN3c106ScalarES6_S6_RNS1_6TensorEENKUlvE_clEvENKUlvE4_clEvEUllE_EEvT_T0_PN15function_traitsISD_E11result_typeE,comdat
	.globl	_ZN12_GLOBAL__N_141elementwise_kernel_with_index_grid_strideIiZZZN2at6native14range_cuda_outERKN3c106ScalarES6_S6_RNS1_6TensorEENKUlvE_clEvENKUlvE4_clEvEUllE_EEvT_T0_PN15function_traitsISD_E11result_typeE ; -- Begin function _ZN12_GLOBAL__N_141elementwise_kernel_with_index_grid_strideIiZZZN2at6native14range_cuda_outERKN3c106ScalarES6_S6_RNS1_6TensorEENKUlvE_clEvENKUlvE4_clEvEUllE_EEvT_T0_PN15function_traitsISD_E11result_typeE
	.p2align	8
	.type	_ZN12_GLOBAL__N_141elementwise_kernel_with_index_grid_strideIiZZZN2at6native14range_cuda_outERKN3c106ScalarES6_S6_RNS1_6TensorEENKUlvE_clEvENKUlvE4_clEvEUllE_EEvT_T0_PN15function_traitsISD_E11result_typeE,@function
_ZN12_GLOBAL__N_141elementwise_kernel_with_index_grid_strideIiZZZN2at6native14range_cuda_outERKN3c106ScalarES6_S6_RNS1_6TensorEENKUlvE_clEvENKUlvE4_clEvEUllE_EEvT_T0_PN15function_traitsISD_E11result_typeE: ; @_ZN12_GLOBAL__N_141elementwise_kernel_with_index_grid_strideIiZZZN2at6native14range_cuda_outERKN3c106ScalarES6_S6_RNS1_6TensorEENKUlvE_clEvENKUlvE4_clEvEUllE_EEvT_T0_PN15function_traitsISD_E11result_typeE
; %bb.0:
	s_clause 0x1
	s_load_dword s2, s[4:5], 0x2c
	s_load_dword s10, s[4:5], 0x0
	s_add_u32 s0, s4, 32
	s_addc_u32 s1, s5, 0
	s_mov_b32 s3, exec_lo
	s_waitcnt lgkmcnt(0)
	s_and_b32 s2, s2, 0xffff
	v_mad_u64_u32 v[0:1], null, s6, s2, v[0:1]
	v_cmpx_gt_i32_e64 s10, v0
	s_cbranch_execz .LBB56_3
; %bb.1:
	s_load_dword s3, s[0:1], 0x0
	s_clause 0x1
	s_load_dwordx2 s[0:1], s[4:5], 0x18
	s_load_dwordx4 s[4:7], s[4:5], 0x8
	v_ashrrev_i32_e32 v1, 31, v0
	v_lshlrev_b64 v[1:2], 3, v[0:1]
	s_waitcnt lgkmcnt(0)
	s_mul_i32 s2, s3, s2
	v_add_co_u32 v1, vcc_lo, s0, v1
	v_add_co_ci_u32_e64 v2, null, s1, v2, vcc_lo
	s_ashr_i32 s3, s2, 31
	s_mov_b32 s1, 0
	s_lshl_b64 s[8:9], s[2:3], 3
.LBB56_2:                               ; =>This Inner Loop Header: Depth=1
	v_cvt_f64_i32_e32 v[3:4], v0
	v_add_nc_u32_e32 v0, s2, v0
	v_cmp_le_i32_e32 vcc_lo, s10, v0
	s_or_b32 s1, vcc_lo, s1
	v_fma_f64 v[3:4], s[6:7], v[3:4], s[4:5]
	global_store_dwordx2 v[1:2], v[3:4], off
	v_add_co_u32 v1, s0, v1, s8
	v_add_co_ci_u32_e64 v2, null, s9, v2, s0
	s_andn2_b32 exec_lo, exec_lo, s1
	s_cbranch_execnz .LBB56_2
.LBB56_3:
	s_endpgm
	.section	.rodata,"a",@progbits
	.p2align	6, 0x0
	.amdhsa_kernel _ZN12_GLOBAL__N_141elementwise_kernel_with_index_grid_strideIiZZZN2at6native14range_cuda_outERKN3c106ScalarES6_S6_RNS1_6TensorEENKUlvE_clEvENKUlvE4_clEvEUllE_EEvT_T0_PN15function_traitsISD_E11result_typeE
		.amdhsa_group_segment_fixed_size 0
		.amdhsa_private_segment_fixed_size 0
		.amdhsa_kernarg_size 288
		.amdhsa_user_sgpr_count 6
		.amdhsa_user_sgpr_private_segment_buffer 1
		.amdhsa_user_sgpr_dispatch_ptr 0
		.amdhsa_user_sgpr_queue_ptr 0
		.amdhsa_user_sgpr_kernarg_segment_ptr 1
		.amdhsa_user_sgpr_dispatch_id 0
		.amdhsa_user_sgpr_flat_scratch_init 0
		.amdhsa_user_sgpr_private_segment_size 0
		.amdhsa_wavefront_size32 1
		.amdhsa_uses_dynamic_stack 0
		.amdhsa_system_sgpr_private_segment_wavefront_offset 0
		.amdhsa_system_sgpr_workgroup_id_x 1
		.amdhsa_system_sgpr_workgroup_id_y 0
		.amdhsa_system_sgpr_workgroup_id_z 0
		.amdhsa_system_sgpr_workgroup_info 0
		.amdhsa_system_vgpr_workitem_id 0
		.amdhsa_next_free_vgpr 5
		.amdhsa_next_free_sgpr 11
		.amdhsa_reserve_vcc 1
		.amdhsa_reserve_flat_scratch 0
		.amdhsa_float_round_mode_32 0
		.amdhsa_float_round_mode_16_64 0
		.amdhsa_float_denorm_mode_32 3
		.amdhsa_float_denorm_mode_16_64 3
		.amdhsa_dx10_clamp 1
		.amdhsa_ieee_mode 1
		.amdhsa_fp16_overflow 0
		.amdhsa_workgroup_processor_mode 1
		.amdhsa_memory_ordered 1
		.amdhsa_forward_progress 1
		.amdhsa_shared_vgpr_count 0
		.amdhsa_exception_fp_ieee_invalid_op 0
		.amdhsa_exception_fp_denorm_src 0
		.amdhsa_exception_fp_ieee_div_zero 0
		.amdhsa_exception_fp_ieee_overflow 0
		.amdhsa_exception_fp_ieee_underflow 0
		.amdhsa_exception_fp_ieee_inexact 0
		.amdhsa_exception_int_div_zero 0
	.end_amdhsa_kernel
	.section	.text._ZN12_GLOBAL__N_141elementwise_kernel_with_index_grid_strideIiZZZN2at6native14range_cuda_outERKN3c106ScalarES6_S6_RNS1_6TensorEENKUlvE_clEvENKUlvE4_clEvEUllE_EEvT_T0_PN15function_traitsISD_E11result_typeE,"axG",@progbits,_ZN12_GLOBAL__N_141elementwise_kernel_with_index_grid_strideIiZZZN2at6native14range_cuda_outERKN3c106ScalarES6_S6_RNS1_6TensorEENKUlvE_clEvENKUlvE4_clEvEUllE_EEvT_T0_PN15function_traitsISD_E11result_typeE,comdat
.Lfunc_end56:
	.size	_ZN12_GLOBAL__N_141elementwise_kernel_with_index_grid_strideIiZZZN2at6native14range_cuda_outERKN3c106ScalarES6_S6_RNS1_6TensorEENKUlvE_clEvENKUlvE4_clEvEUllE_EEvT_T0_PN15function_traitsISD_E11result_typeE, .Lfunc_end56-_ZN12_GLOBAL__N_141elementwise_kernel_with_index_grid_strideIiZZZN2at6native14range_cuda_outERKN3c106ScalarES6_S6_RNS1_6TensorEENKUlvE_clEvENKUlvE4_clEvEUllE_EEvT_T0_PN15function_traitsISD_E11result_typeE
                                        ; -- End function
	.set _ZN12_GLOBAL__N_141elementwise_kernel_with_index_grid_strideIiZZZN2at6native14range_cuda_outERKN3c106ScalarES6_S6_RNS1_6TensorEENKUlvE_clEvENKUlvE4_clEvEUllE_EEvT_T0_PN15function_traitsISD_E11result_typeE.num_vgpr, 5
	.set _ZN12_GLOBAL__N_141elementwise_kernel_with_index_grid_strideIiZZZN2at6native14range_cuda_outERKN3c106ScalarES6_S6_RNS1_6TensorEENKUlvE_clEvENKUlvE4_clEvEUllE_EEvT_T0_PN15function_traitsISD_E11result_typeE.num_agpr, 0
	.set _ZN12_GLOBAL__N_141elementwise_kernel_with_index_grid_strideIiZZZN2at6native14range_cuda_outERKN3c106ScalarES6_S6_RNS1_6TensorEENKUlvE_clEvENKUlvE4_clEvEUllE_EEvT_T0_PN15function_traitsISD_E11result_typeE.numbered_sgpr, 11
	.set _ZN12_GLOBAL__N_141elementwise_kernel_with_index_grid_strideIiZZZN2at6native14range_cuda_outERKN3c106ScalarES6_S6_RNS1_6TensorEENKUlvE_clEvENKUlvE4_clEvEUllE_EEvT_T0_PN15function_traitsISD_E11result_typeE.num_named_barrier, 0
	.set _ZN12_GLOBAL__N_141elementwise_kernel_with_index_grid_strideIiZZZN2at6native14range_cuda_outERKN3c106ScalarES6_S6_RNS1_6TensorEENKUlvE_clEvENKUlvE4_clEvEUllE_EEvT_T0_PN15function_traitsISD_E11result_typeE.private_seg_size, 0
	.set _ZN12_GLOBAL__N_141elementwise_kernel_with_index_grid_strideIiZZZN2at6native14range_cuda_outERKN3c106ScalarES6_S6_RNS1_6TensorEENKUlvE_clEvENKUlvE4_clEvEUllE_EEvT_T0_PN15function_traitsISD_E11result_typeE.uses_vcc, 1
	.set _ZN12_GLOBAL__N_141elementwise_kernel_with_index_grid_strideIiZZZN2at6native14range_cuda_outERKN3c106ScalarES6_S6_RNS1_6TensorEENKUlvE_clEvENKUlvE4_clEvEUllE_EEvT_T0_PN15function_traitsISD_E11result_typeE.uses_flat_scratch, 0
	.set _ZN12_GLOBAL__N_141elementwise_kernel_with_index_grid_strideIiZZZN2at6native14range_cuda_outERKN3c106ScalarES6_S6_RNS1_6TensorEENKUlvE_clEvENKUlvE4_clEvEUllE_EEvT_T0_PN15function_traitsISD_E11result_typeE.has_dyn_sized_stack, 0
	.set _ZN12_GLOBAL__N_141elementwise_kernel_with_index_grid_strideIiZZZN2at6native14range_cuda_outERKN3c106ScalarES6_S6_RNS1_6TensorEENKUlvE_clEvENKUlvE4_clEvEUllE_EEvT_T0_PN15function_traitsISD_E11result_typeE.has_recursion, 0
	.set _ZN12_GLOBAL__N_141elementwise_kernel_with_index_grid_strideIiZZZN2at6native14range_cuda_outERKN3c106ScalarES6_S6_RNS1_6TensorEENKUlvE_clEvENKUlvE4_clEvEUllE_EEvT_T0_PN15function_traitsISD_E11result_typeE.has_indirect_call, 0
	.section	.AMDGPU.csdata,"",@progbits
; Kernel info:
; codeLenInByte = 200
; TotalNumSgprs: 13
; NumVgprs: 5
; ScratchSize: 0
; MemoryBound: 0
; FloatMode: 240
; IeeeMode: 1
; LDSByteSize: 0 bytes/workgroup (compile time only)
; SGPRBlocks: 0
; VGPRBlocks: 0
; NumSGPRsForWavesPerEU: 13
; NumVGPRsForWavesPerEU: 5
; Occupancy: 16
; WaveLimiterHint : 0
; COMPUTE_PGM_RSRC2:SCRATCH_EN: 0
; COMPUTE_PGM_RSRC2:USER_SGPR: 6
; COMPUTE_PGM_RSRC2:TRAP_HANDLER: 0
; COMPUTE_PGM_RSRC2:TGID_X_EN: 1
; COMPUTE_PGM_RSRC2:TGID_Y_EN: 0
; COMPUTE_PGM_RSRC2:TGID_Z_EN: 0
; COMPUTE_PGM_RSRC2:TIDIG_COMP_CNT: 0
	.section	.text._ZN12_GLOBAL__N_141elementwise_kernel_with_index_grid_strideIlZZZN2at6native14range_cuda_outERKN3c106ScalarES6_S6_RNS1_6TensorEENKUlvE_clEvENKUlvE4_clEvEUllE_EEvT_T0_PN15function_traitsISD_E11result_typeE,"axG",@progbits,_ZN12_GLOBAL__N_141elementwise_kernel_with_index_grid_strideIlZZZN2at6native14range_cuda_outERKN3c106ScalarES6_S6_RNS1_6TensorEENKUlvE_clEvENKUlvE4_clEvEUllE_EEvT_T0_PN15function_traitsISD_E11result_typeE,comdat
	.globl	_ZN12_GLOBAL__N_141elementwise_kernel_with_index_grid_strideIlZZZN2at6native14range_cuda_outERKN3c106ScalarES6_S6_RNS1_6TensorEENKUlvE_clEvENKUlvE4_clEvEUllE_EEvT_T0_PN15function_traitsISD_E11result_typeE ; -- Begin function _ZN12_GLOBAL__N_141elementwise_kernel_with_index_grid_strideIlZZZN2at6native14range_cuda_outERKN3c106ScalarES6_S6_RNS1_6TensorEENKUlvE_clEvENKUlvE4_clEvEUllE_EEvT_T0_PN15function_traitsISD_E11result_typeE
	.p2align	8
	.type	_ZN12_GLOBAL__N_141elementwise_kernel_with_index_grid_strideIlZZZN2at6native14range_cuda_outERKN3c106ScalarES6_S6_RNS1_6TensorEENKUlvE_clEvENKUlvE4_clEvEUllE_EEvT_T0_PN15function_traitsISD_E11result_typeE,@function
_ZN12_GLOBAL__N_141elementwise_kernel_with_index_grid_strideIlZZZN2at6native14range_cuda_outERKN3c106ScalarES6_S6_RNS1_6TensorEENKUlvE_clEvENKUlvE4_clEvEUllE_EEvT_T0_PN15function_traitsISD_E11result_typeE: ; @_ZN12_GLOBAL__N_141elementwise_kernel_with_index_grid_strideIlZZZN2at6native14range_cuda_outERKN3c106ScalarES6_S6_RNS1_6TensorEENKUlvE_clEvENKUlvE4_clEvEUllE_EEvT_T0_PN15function_traitsISD_E11result_typeE
; %bb.0:
	s_clause 0x1
	s_load_dword s2, s[4:5], 0x2c
	s_load_dwordx8 s[8:15], s[4:5], 0x0
	v_mov_b32_e32 v1, 0
	s_add_u32 s0, s4, 32
	s_addc_u32 s1, s5, 0
	s_mov_b32 s3, exec_lo
	s_waitcnt lgkmcnt(0)
	s_and_b32 s2, s2, 0xffff
	v_mad_u64_u32 v[0:1], null, s2, s6, v[0:1]
	v_cmpx_gt_i64_e64 s[8:9], v[0:1]
	s_cbranch_execz .LBB57_3
; %bb.1:
	s_load_dword s0, s[0:1], 0x0
	v_lshlrev_b64 v[2:3], 3, v[0:1]
	s_mov_b32 s1, 0
	v_add_co_u32 v2, vcc_lo, s14, v2
	v_add_co_ci_u32_e64 v3, null, s15, v3, vcc_lo
	s_waitcnt lgkmcnt(0)
	s_mul_hi_u32 s3, s2, s0
	s_mul_i32 s2, s2, s0
	s_lshl_b64 s[4:5], s[2:3], 3
	.p2align	6
.LBB57_2:                               ; =>This Inner Loop Header: Depth=1
	v_cvt_f64_u32_e32 v[4:5], v1
	v_cvt_f64_u32_e32 v[6:7], v0
	v_add_co_u32 v0, vcc_lo, v0, s2
	v_add_co_ci_u32_e64 v1, null, s3, v1, vcc_lo
	v_cmp_le_i64_e32 vcc_lo, s[8:9], v[0:1]
	s_or_b32 s1, vcc_lo, s1
	v_ldexp_f64 v[4:5], v[4:5], 32
	v_add_f64 v[4:5], v[4:5], v[6:7]
	v_fma_f64 v[4:5], s[12:13], v[4:5], s[10:11]
	global_store_dwordx2 v[2:3], v[4:5], off
	v_add_co_u32 v2, s0, v2, s4
	v_add_co_ci_u32_e64 v3, null, s5, v3, s0
	s_andn2_b32 exec_lo, exec_lo, s1
	s_cbranch_execnz .LBB57_2
.LBB57_3:
	s_endpgm
	.section	.rodata,"a",@progbits
	.p2align	6, 0x0
	.amdhsa_kernel _ZN12_GLOBAL__N_141elementwise_kernel_with_index_grid_strideIlZZZN2at6native14range_cuda_outERKN3c106ScalarES6_S6_RNS1_6TensorEENKUlvE_clEvENKUlvE4_clEvEUllE_EEvT_T0_PN15function_traitsISD_E11result_typeE
		.amdhsa_group_segment_fixed_size 0
		.amdhsa_private_segment_fixed_size 0
		.amdhsa_kernarg_size 288
		.amdhsa_user_sgpr_count 6
		.amdhsa_user_sgpr_private_segment_buffer 1
		.amdhsa_user_sgpr_dispatch_ptr 0
		.amdhsa_user_sgpr_queue_ptr 0
		.amdhsa_user_sgpr_kernarg_segment_ptr 1
		.amdhsa_user_sgpr_dispatch_id 0
		.amdhsa_user_sgpr_flat_scratch_init 0
		.amdhsa_user_sgpr_private_segment_size 0
		.amdhsa_wavefront_size32 1
		.amdhsa_uses_dynamic_stack 0
		.amdhsa_system_sgpr_private_segment_wavefront_offset 0
		.amdhsa_system_sgpr_workgroup_id_x 1
		.amdhsa_system_sgpr_workgroup_id_y 0
		.amdhsa_system_sgpr_workgroup_id_z 0
		.amdhsa_system_sgpr_workgroup_info 0
		.amdhsa_system_vgpr_workitem_id 0
		.amdhsa_next_free_vgpr 8
		.amdhsa_next_free_sgpr 16
		.amdhsa_reserve_vcc 1
		.amdhsa_reserve_flat_scratch 0
		.amdhsa_float_round_mode_32 0
		.amdhsa_float_round_mode_16_64 0
		.amdhsa_float_denorm_mode_32 3
		.amdhsa_float_denorm_mode_16_64 3
		.amdhsa_dx10_clamp 1
		.amdhsa_ieee_mode 1
		.amdhsa_fp16_overflow 0
		.amdhsa_workgroup_processor_mode 1
		.amdhsa_memory_ordered 1
		.amdhsa_forward_progress 1
		.amdhsa_shared_vgpr_count 0
		.amdhsa_exception_fp_ieee_invalid_op 0
		.amdhsa_exception_fp_denorm_src 0
		.amdhsa_exception_fp_ieee_div_zero 0
		.amdhsa_exception_fp_ieee_overflow 0
		.amdhsa_exception_fp_ieee_underflow 0
		.amdhsa_exception_fp_ieee_inexact 0
		.amdhsa_exception_int_div_zero 0
	.end_amdhsa_kernel
	.section	.text._ZN12_GLOBAL__N_141elementwise_kernel_with_index_grid_strideIlZZZN2at6native14range_cuda_outERKN3c106ScalarES6_S6_RNS1_6TensorEENKUlvE_clEvENKUlvE4_clEvEUllE_EEvT_T0_PN15function_traitsISD_E11result_typeE,"axG",@progbits,_ZN12_GLOBAL__N_141elementwise_kernel_with_index_grid_strideIlZZZN2at6native14range_cuda_outERKN3c106ScalarES6_S6_RNS1_6TensorEENKUlvE_clEvENKUlvE4_clEvEUllE_EEvT_T0_PN15function_traitsISD_E11result_typeE,comdat
.Lfunc_end57:
	.size	_ZN12_GLOBAL__N_141elementwise_kernel_with_index_grid_strideIlZZZN2at6native14range_cuda_outERKN3c106ScalarES6_S6_RNS1_6TensorEENKUlvE_clEvENKUlvE4_clEvEUllE_EEvT_T0_PN15function_traitsISD_E11result_typeE, .Lfunc_end57-_ZN12_GLOBAL__N_141elementwise_kernel_with_index_grid_strideIlZZZN2at6native14range_cuda_outERKN3c106ScalarES6_S6_RNS1_6TensorEENKUlvE_clEvENKUlvE4_clEvEUllE_EEvT_T0_PN15function_traitsISD_E11result_typeE
                                        ; -- End function
	.set _ZN12_GLOBAL__N_141elementwise_kernel_with_index_grid_strideIlZZZN2at6native14range_cuda_outERKN3c106ScalarES6_S6_RNS1_6TensorEENKUlvE_clEvENKUlvE4_clEvEUllE_EEvT_T0_PN15function_traitsISD_E11result_typeE.num_vgpr, 8
	.set _ZN12_GLOBAL__N_141elementwise_kernel_with_index_grid_strideIlZZZN2at6native14range_cuda_outERKN3c106ScalarES6_S6_RNS1_6TensorEENKUlvE_clEvENKUlvE4_clEvEUllE_EEvT_T0_PN15function_traitsISD_E11result_typeE.num_agpr, 0
	.set _ZN12_GLOBAL__N_141elementwise_kernel_with_index_grid_strideIlZZZN2at6native14range_cuda_outERKN3c106ScalarES6_S6_RNS1_6TensorEENKUlvE_clEvENKUlvE4_clEvEUllE_EEvT_T0_PN15function_traitsISD_E11result_typeE.numbered_sgpr, 16
	.set _ZN12_GLOBAL__N_141elementwise_kernel_with_index_grid_strideIlZZZN2at6native14range_cuda_outERKN3c106ScalarES6_S6_RNS1_6TensorEENKUlvE_clEvENKUlvE4_clEvEUllE_EEvT_T0_PN15function_traitsISD_E11result_typeE.num_named_barrier, 0
	.set _ZN12_GLOBAL__N_141elementwise_kernel_with_index_grid_strideIlZZZN2at6native14range_cuda_outERKN3c106ScalarES6_S6_RNS1_6TensorEENKUlvE_clEvENKUlvE4_clEvEUllE_EEvT_T0_PN15function_traitsISD_E11result_typeE.private_seg_size, 0
	.set _ZN12_GLOBAL__N_141elementwise_kernel_with_index_grid_strideIlZZZN2at6native14range_cuda_outERKN3c106ScalarES6_S6_RNS1_6TensorEENKUlvE_clEvENKUlvE4_clEvEUllE_EEvT_T0_PN15function_traitsISD_E11result_typeE.uses_vcc, 1
	.set _ZN12_GLOBAL__N_141elementwise_kernel_with_index_grid_strideIlZZZN2at6native14range_cuda_outERKN3c106ScalarES6_S6_RNS1_6TensorEENKUlvE_clEvENKUlvE4_clEvEUllE_EEvT_T0_PN15function_traitsISD_E11result_typeE.uses_flat_scratch, 0
	.set _ZN12_GLOBAL__N_141elementwise_kernel_with_index_grid_strideIlZZZN2at6native14range_cuda_outERKN3c106ScalarES6_S6_RNS1_6TensorEENKUlvE_clEvENKUlvE4_clEvEUllE_EEvT_T0_PN15function_traitsISD_E11result_typeE.has_dyn_sized_stack, 0
	.set _ZN12_GLOBAL__N_141elementwise_kernel_with_index_grid_strideIlZZZN2at6native14range_cuda_outERKN3c106ScalarES6_S6_RNS1_6TensorEENKUlvE_clEvENKUlvE4_clEvEUllE_EEvT_T0_PN15function_traitsISD_E11result_typeE.has_recursion, 0
	.set _ZN12_GLOBAL__N_141elementwise_kernel_with_index_grid_strideIlZZZN2at6native14range_cuda_outERKN3c106ScalarES6_S6_RNS1_6TensorEENKUlvE_clEvENKUlvE4_clEvEUllE_EEvT_T0_PN15function_traitsISD_E11result_typeE.has_indirect_call, 0
	.section	.AMDGPU.csdata,"",@progbits
; Kernel info:
; codeLenInByte = 220
; TotalNumSgprs: 18
; NumVgprs: 8
; ScratchSize: 0
; MemoryBound: 0
; FloatMode: 240
; IeeeMode: 1
; LDSByteSize: 0 bytes/workgroup (compile time only)
; SGPRBlocks: 0
; VGPRBlocks: 0
; NumSGPRsForWavesPerEU: 18
; NumVGPRsForWavesPerEU: 8
; Occupancy: 16
; WaveLimiterHint : 0
; COMPUTE_PGM_RSRC2:SCRATCH_EN: 0
; COMPUTE_PGM_RSRC2:USER_SGPR: 6
; COMPUTE_PGM_RSRC2:TRAP_HANDLER: 0
; COMPUTE_PGM_RSRC2:TGID_X_EN: 1
; COMPUTE_PGM_RSRC2:TGID_Y_EN: 0
; COMPUTE_PGM_RSRC2:TGID_Z_EN: 0
; COMPUTE_PGM_RSRC2:TIDIG_COMP_CNT: 0
	.section	.text._ZN12_GLOBAL__N_141elementwise_kernel_with_index_grid_strideIiZZZN2at6native14range_cuda_outERKN3c106ScalarES6_S6_RNS1_6TensorEENKUlvE_clEvENKUlvE5_clEvEUllE_EEvT_T0_PN15function_traitsISD_E11result_typeE,"axG",@progbits,_ZN12_GLOBAL__N_141elementwise_kernel_with_index_grid_strideIiZZZN2at6native14range_cuda_outERKN3c106ScalarES6_S6_RNS1_6TensorEENKUlvE_clEvENKUlvE5_clEvEUllE_EEvT_T0_PN15function_traitsISD_E11result_typeE,comdat
	.globl	_ZN12_GLOBAL__N_141elementwise_kernel_with_index_grid_strideIiZZZN2at6native14range_cuda_outERKN3c106ScalarES6_S6_RNS1_6TensorEENKUlvE_clEvENKUlvE5_clEvEUllE_EEvT_T0_PN15function_traitsISD_E11result_typeE ; -- Begin function _ZN12_GLOBAL__N_141elementwise_kernel_with_index_grid_strideIiZZZN2at6native14range_cuda_outERKN3c106ScalarES6_S6_RNS1_6TensorEENKUlvE_clEvENKUlvE5_clEvEUllE_EEvT_T0_PN15function_traitsISD_E11result_typeE
	.p2align	8
	.type	_ZN12_GLOBAL__N_141elementwise_kernel_with_index_grid_strideIiZZZN2at6native14range_cuda_outERKN3c106ScalarES6_S6_RNS1_6TensorEENKUlvE_clEvENKUlvE5_clEvEUllE_EEvT_T0_PN15function_traitsISD_E11result_typeE,@function
_ZN12_GLOBAL__N_141elementwise_kernel_with_index_grid_strideIiZZZN2at6native14range_cuda_outERKN3c106ScalarES6_S6_RNS1_6TensorEENKUlvE_clEvENKUlvE5_clEvEUllE_EEvT_T0_PN15function_traitsISD_E11result_typeE: ; @_ZN12_GLOBAL__N_141elementwise_kernel_with_index_grid_strideIiZZZN2at6native14range_cuda_outERKN3c106ScalarES6_S6_RNS1_6TensorEENKUlvE_clEvENKUlvE5_clEvEUllE_EEvT_T0_PN15function_traitsISD_E11result_typeE
; %bb.0:
	s_clause 0x1
	s_load_dword s2, s[4:5], 0x24
	s_load_dwordx4 s[8:11], s[4:5], 0x0
	s_add_u32 s0, s4, 24
	s_addc_u32 s1, s5, 0
	s_mov_b32 s3, exec_lo
	s_waitcnt lgkmcnt(0)
	s_and_b32 s2, s2, 0xffff
	v_mad_u64_u32 v[0:1], null, s6, s2, v[0:1]
	v_cmpx_gt_i32_e64 s8, v0
	s_cbranch_execz .LBB58_3
; %bb.1:
	s_load_dword s3, s[0:1], 0x0
	s_load_dwordx2 s[0:1], s[4:5], 0x10
	v_ashrrev_i32_e32 v1, 31, v0
	v_lshlrev_b64 v[1:2], 2, v[0:1]
	s_waitcnt lgkmcnt(0)
	s_mul_i32 s2, s3, s2
	v_add_co_u32 v1, vcc_lo, s0, v1
	v_add_co_ci_u32_e64 v2, null, s1, v2, vcc_lo
	s_ashr_i32 s3, s2, 31
	s_mov_b32 s1, 0
	s_lshl_b64 s[4:5], s[2:3], 2
.LBB58_2:                               ; =>This Inner Loop Header: Depth=1
	v_cvt_f32_i32_e32 v3, v0
	v_add_nc_u32_e32 v0, s2, v0
	v_fma_f32 v3, s10, v3, s9
	v_cmp_le_i32_e32 vcc_lo, s8, v0
	global_store_dword v[1:2], v3, off
	v_add_co_u32 v1, s0, v1, s4
	v_add_co_ci_u32_e64 v2, null, s5, v2, s0
	s_or_b32 s1, vcc_lo, s1
	s_andn2_b32 exec_lo, exec_lo, s1
	s_cbranch_execnz .LBB58_2
.LBB58_3:
	s_endpgm
	.section	.rodata,"a",@progbits
	.p2align	6, 0x0
	.amdhsa_kernel _ZN12_GLOBAL__N_141elementwise_kernel_with_index_grid_strideIiZZZN2at6native14range_cuda_outERKN3c106ScalarES6_S6_RNS1_6TensorEENKUlvE_clEvENKUlvE5_clEvEUllE_EEvT_T0_PN15function_traitsISD_E11result_typeE
		.amdhsa_group_segment_fixed_size 0
		.amdhsa_private_segment_fixed_size 0
		.amdhsa_kernarg_size 280
		.amdhsa_user_sgpr_count 6
		.amdhsa_user_sgpr_private_segment_buffer 1
		.amdhsa_user_sgpr_dispatch_ptr 0
		.amdhsa_user_sgpr_queue_ptr 0
		.amdhsa_user_sgpr_kernarg_segment_ptr 1
		.amdhsa_user_sgpr_dispatch_id 0
		.amdhsa_user_sgpr_flat_scratch_init 0
		.amdhsa_user_sgpr_private_segment_size 0
		.amdhsa_wavefront_size32 1
		.amdhsa_uses_dynamic_stack 0
		.amdhsa_system_sgpr_private_segment_wavefront_offset 0
		.amdhsa_system_sgpr_workgroup_id_x 1
		.amdhsa_system_sgpr_workgroup_id_y 0
		.amdhsa_system_sgpr_workgroup_id_z 0
		.amdhsa_system_sgpr_workgroup_info 0
		.amdhsa_system_vgpr_workitem_id 0
		.amdhsa_next_free_vgpr 4
		.amdhsa_next_free_sgpr 12
		.amdhsa_reserve_vcc 1
		.amdhsa_reserve_flat_scratch 0
		.amdhsa_float_round_mode_32 0
		.amdhsa_float_round_mode_16_64 0
		.amdhsa_float_denorm_mode_32 3
		.amdhsa_float_denorm_mode_16_64 3
		.amdhsa_dx10_clamp 1
		.amdhsa_ieee_mode 1
		.amdhsa_fp16_overflow 0
		.amdhsa_workgroup_processor_mode 1
		.amdhsa_memory_ordered 1
		.amdhsa_forward_progress 1
		.amdhsa_shared_vgpr_count 0
		.amdhsa_exception_fp_ieee_invalid_op 0
		.amdhsa_exception_fp_denorm_src 0
		.amdhsa_exception_fp_ieee_div_zero 0
		.amdhsa_exception_fp_ieee_overflow 0
		.amdhsa_exception_fp_ieee_underflow 0
		.amdhsa_exception_fp_ieee_inexact 0
		.amdhsa_exception_int_div_zero 0
	.end_amdhsa_kernel
	.section	.text._ZN12_GLOBAL__N_141elementwise_kernel_with_index_grid_strideIiZZZN2at6native14range_cuda_outERKN3c106ScalarES6_S6_RNS1_6TensorEENKUlvE_clEvENKUlvE5_clEvEUllE_EEvT_T0_PN15function_traitsISD_E11result_typeE,"axG",@progbits,_ZN12_GLOBAL__N_141elementwise_kernel_with_index_grid_strideIiZZZN2at6native14range_cuda_outERKN3c106ScalarES6_S6_RNS1_6TensorEENKUlvE_clEvENKUlvE5_clEvEUllE_EEvT_T0_PN15function_traitsISD_E11result_typeE,comdat
.Lfunc_end58:
	.size	_ZN12_GLOBAL__N_141elementwise_kernel_with_index_grid_strideIiZZZN2at6native14range_cuda_outERKN3c106ScalarES6_S6_RNS1_6TensorEENKUlvE_clEvENKUlvE5_clEvEUllE_EEvT_T0_PN15function_traitsISD_E11result_typeE, .Lfunc_end58-_ZN12_GLOBAL__N_141elementwise_kernel_with_index_grid_strideIiZZZN2at6native14range_cuda_outERKN3c106ScalarES6_S6_RNS1_6TensorEENKUlvE_clEvENKUlvE5_clEvEUllE_EEvT_T0_PN15function_traitsISD_E11result_typeE
                                        ; -- End function
	.set _ZN12_GLOBAL__N_141elementwise_kernel_with_index_grid_strideIiZZZN2at6native14range_cuda_outERKN3c106ScalarES6_S6_RNS1_6TensorEENKUlvE_clEvENKUlvE5_clEvEUllE_EEvT_T0_PN15function_traitsISD_E11result_typeE.num_vgpr, 4
	.set _ZN12_GLOBAL__N_141elementwise_kernel_with_index_grid_strideIiZZZN2at6native14range_cuda_outERKN3c106ScalarES6_S6_RNS1_6TensorEENKUlvE_clEvENKUlvE5_clEvEUllE_EEvT_T0_PN15function_traitsISD_E11result_typeE.num_agpr, 0
	.set _ZN12_GLOBAL__N_141elementwise_kernel_with_index_grid_strideIiZZZN2at6native14range_cuda_outERKN3c106ScalarES6_S6_RNS1_6TensorEENKUlvE_clEvENKUlvE5_clEvEUllE_EEvT_T0_PN15function_traitsISD_E11result_typeE.numbered_sgpr, 12
	.set _ZN12_GLOBAL__N_141elementwise_kernel_with_index_grid_strideIiZZZN2at6native14range_cuda_outERKN3c106ScalarES6_S6_RNS1_6TensorEENKUlvE_clEvENKUlvE5_clEvEUllE_EEvT_T0_PN15function_traitsISD_E11result_typeE.num_named_barrier, 0
	.set _ZN12_GLOBAL__N_141elementwise_kernel_with_index_grid_strideIiZZZN2at6native14range_cuda_outERKN3c106ScalarES6_S6_RNS1_6TensorEENKUlvE_clEvENKUlvE5_clEvEUllE_EEvT_T0_PN15function_traitsISD_E11result_typeE.private_seg_size, 0
	.set _ZN12_GLOBAL__N_141elementwise_kernel_with_index_grid_strideIiZZZN2at6native14range_cuda_outERKN3c106ScalarES6_S6_RNS1_6TensorEENKUlvE_clEvENKUlvE5_clEvEUllE_EEvT_T0_PN15function_traitsISD_E11result_typeE.uses_vcc, 1
	.set _ZN12_GLOBAL__N_141elementwise_kernel_with_index_grid_strideIiZZZN2at6native14range_cuda_outERKN3c106ScalarES6_S6_RNS1_6TensorEENKUlvE_clEvENKUlvE5_clEvEUllE_EEvT_T0_PN15function_traitsISD_E11result_typeE.uses_flat_scratch, 0
	.set _ZN12_GLOBAL__N_141elementwise_kernel_with_index_grid_strideIiZZZN2at6native14range_cuda_outERKN3c106ScalarES6_S6_RNS1_6TensorEENKUlvE_clEvENKUlvE5_clEvEUllE_EEvT_T0_PN15function_traitsISD_E11result_typeE.has_dyn_sized_stack, 0
	.set _ZN12_GLOBAL__N_141elementwise_kernel_with_index_grid_strideIiZZZN2at6native14range_cuda_outERKN3c106ScalarES6_S6_RNS1_6TensorEENKUlvE_clEvENKUlvE5_clEvEUllE_EEvT_T0_PN15function_traitsISD_E11result_typeE.has_recursion, 0
	.set _ZN12_GLOBAL__N_141elementwise_kernel_with_index_grid_strideIiZZZN2at6native14range_cuda_outERKN3c106ScalarES6_S6_RNS1_6TensorEENKUlvE_clEvENKUlvE5_clEvEUllE_EEvT_T0_PN15function_traitsISD_E11result_typeE.has_indirect_call, 0
	.section	.AMDGPU.csdata,"",@progbits
; Kernel info:
; codeLenInByte = 188
; TotalNumSgprs: 14
; NumVgprs: 4
; ScratchSize: 0
; MemoryBound: 0
; FloatMode: 240
; IeeeMode: 1
; LDSByteSize: 0 bytes/workgroup (compile time only)
; SGPRBlocks: 0
; VGPRBlocks: 0
; NumSGPRsForWavesPerEU: 14
; NumVGPRsForWavesPerEU: 4
; Occupancy: 16
; WaveLimiterHint : 0
; COMPUTE_PGM_RSRC2:SCRATCH_EN: 0
; COMPUTE_PGM_RSRC2:USER_SGPR: 6
; COMPUTE_PGM_RSRC2:TRAP_HANDLER: 0
; COMPUTE_PGM_RSRC2:TGID_X_EN: 1
; COMPUTE_PGM_RSRC2:TGID_Y_EN: 0
; COMPUTE_PGM_RSRC2:TGID_Z_EN: 0
; COMPUTE_PGM_RSRC2:TIDIG_COMP_CNT: 0
	.section	.text._ZN12_GLOBAL__N_141elementwise_kernel_with_index_grid_strideIlZZZN2at6native14range_cuda_outERKN3c106ScalarES6_S6_RNS1_6TensorEENKUlvE_clEvENKUlvE5_clEvEUllE_EEvT_T0_PN15function_traitsISD_E11result_typeE,"axG",@progbits,_ZN12_GLOBAL__N_141elementwise_kernel_with_index_grid_strideIlZZZN2at6native14range_cuda_outERKN3c106ScalarES6_S6_RNS1_6TensorEENKUlvE_clEvENKUlvE5_clEvEUllE_EEvT_T0_PN15function_traitsISD_E11result_typeE,comdat
	.globl	_ZN12_GLOBAL__N_141elementwise_kernel_with_index_grid_strideIlZZZN2at6native14range_cuda_outERKN3c106ScalarES6_S6_RNS1_6TensorEENKUlvE_clEvENKUlvE5_clEvEUllE_EEvT_T0_PN15function_traitsISD_E11result_typeE ; -- Begin function _ZN12_GLOBAL__N_141elementwise_kernel_with_index_grid_strideIlZZZN2at6native14range_cuda_outERKN3c106ScalarES6_S6_RNS1_6TensorEENKUlvE_clEvENKUlvE5_clEvEUllE_EEvT_T0_PN15function_traitsISD_E11result_typeE
	.p2align	8
	.type	_ZN12_GLOBAL__N_141elementwise_kernel_with_index_grid_strideIlZZZN2at6native14range_cuda_outERKN3c106ScalarES6_S6_RNS1_6TensorEENKUlvE_clEvENKUlvE5_clEvEUllE_EEvT_T0_PN15function_traitsISD_E11result_typeE,@function
_ZN12_GLOBAL__N_141elementwise_kernel_with_index_grid_strideIlZZZN2at6native14range_cuda_outERKN3c106ScalarES6_S6_RNS1_6TensorEENKUlvE_clEvENKUlvE5_clEvEUllE_EEvT_T0_PN15function_traitsISD_E11result_typeE: ; @_ZN12_GLOBAL__N_141elementwise_kernel_with_index_grid_strideIlZZZN2at6native14range_cuda_outERKN3c106ScalarES6_S6_RNS1_6TensorEENKUlvE_clEvENKUlvE5_clEvEUllE_EEvT_T0_PN15function_traitsISD_E11result_typeE
; %bb.0:
	s_clause 0x1
	s_load_dword s7, s[4:5], 0x24
	s_load_dwordx2 s[2:3], s[4:5], 0x0
	v_mov_b32_e32 v1, 0
	s_add_u32 s0, s4, 24
	s_addc_u32 s1, s5, 0
	s_waitcnt lgkmcnt(0)
	s_and_b32 s8, s7, 0xffff
	v_mad_u64_u32 v[0:1], null, s8, s6, v[0:1]
	s_mov_b32 s6, exec_lo
	v_cmpx_gt_i64_e64 s[2:3], v[0:1]
	s_cbranch_execz .LBB59_3
; %bb.1:
	s_load_dword s0, s[0:1], 0x0
	s_load_dwordx4 s[4:7], s[4:5], 0x8
	v_lshlrev_b64 v[2:3], 2, v[0:1]
	s_mov_b32 s1, 0
	s_waitcnt lgkmcnt(0)
	s_mul_hi_u32 s9, s8, s0
	v_add_co_u32 v2, vcc_lo, s6, v2
	v_add_co_ci_u32_e64 v3, null, s7, v3, vcc_lo
	s_mul_i32 s8, s8, s0
	s_lshl_b64 s[6:7], s[8:9], 2
	.p2align	6
.LBB59_2:                               ; =>This Inner Loop Header: Depth=1
	v_ffbh_u32_e32 v4, v1
	v_min_u32_e32 v6, 32, v4
	v_lshlrev_b64 v[4:5], v6, v[0:1]
	v_sub_nc_u32_e32 v6, 32, v6
	v_add_co_u32 v0, vcc_lo, v0, s8
	v_add_co_ci_u32_e64 v1, null, s9, v1, vcc_lo
	v_min_u32_e32 v4, 1, v4
	v_cmp_le_i64_e32 vcc_lo, s[2:3], v[0:1]
	v_or_b32_e32 v4, v5, v4
	s_or_b32 s1, vcc_lo, s1
	v_cvt_f32_u32_e32 v4, v4
	v_ldexp_f32 v4, v4, v6
	v_fma_f32 v4, s5, v4, s4
	global_store_dword v[2:3], v4, off
	v_add_co_u32 v2, s0, v2, s6
	v_add_co_ci_u32_e64 v3, null, s7, v3, s0
	s_andn2_b32 exec_lo, exec_lo, s1
	s_cbranch_execnz .LBB59_2
.LBB59_3:
	s_endpgm
	.section	.rodata,"a",@progbits
	.p2align	6, 0x0
	.amdhsa_kernel _ZN12_GLOBAL__N_141elementwise_kernel_with_index_grid_strideIlZZZN2at6native14range_cuda_outERKN3c106ScalarES6_S6_RNS1_6TensorEENKUlvE_clEvENKUlvE5_clEvEUllE_EEvT_T0_PN15function_traitsISD_E11result_typeE
		.amdhsa_group_segment_fixed_size 0
		.amdhsa_private_segment_fixed_size 0
		.amdhsa_kernarg_size 280
		.amdhsa_user_sgpr_count 6
		.amdhsa_user_sgpr_private_segment_buffer 1
		.amdhsa_user_sgpr_dispatch_ptr 0
		.amdhsa_user_sgpr_queue_ptr 0
		.amdhsa_user_sgpr_kernarg_segment_ptr 1
		.amdhsa_user_sgpr_dispatch_id 0
		.amdhsa_user_sgpr_flat_scratch_init 0
		.amdhsa_user_sgpr_private_segment_size 0
		.amdhsa_wavefront_size32 1
		.amdhsa_uses_dynamic_stack 0
		.amdhsa_system_sgpr_private_segment_wavefront_offset 0
		.amdhsa_system_sgpr_workgroup_id_x 1
		.amdhsa_system_sgpr_workgroup_id_y 0
		.amdhsa_system_sgpr_workgroup_id_z 0
		.amdhsa_system_sgpr_workgroup_info 0
		.amdhsa_system_vgpr_workitem_id 0
		.amdhsa_next_free_vgpr 7
		.amdhsa_next_free_sgpr 10
		.amdhsa_reserve_vcc 1
		.amdhsa_reserve_flat_scratch 0
		.amdhsa_float_round_mode_32 0
		.amdhsa_float_round_mode_16_64 0
		.amdhsa_float_denorm_mode_32 3
		.amdhsa_float_denorm_mode_16_64 3
		.amdhsa_dx10_clamp 1
		.amdhsa_ieee_mode 1
		.amdhsa_fp16_overflow 0
		.amdhsa_workgroup_processor_mode 1
		.amdhsa_memory_ordered 1
		.amdhsa_forward_progress 1
		.amdhsa_shared_vgpr_count 0
		.amdhsa_exception_fp_ieee_invalid_op 0
		.amdhsa_exception_fp_denorm_src 0
		.amdhsa_exception_fp_ieee_div_zero 0
		.amdhsa_exception_fp_ieee_overflow 0
		.amdhsa_exception_fp_ieee_underflow 0
		.amdhsa_exception_fp_ieee_inexact 0
		.amdhsa_exception_int_div_zero 0
	.end_amdhsa_kernel
	.section	.text._ZN12_GLOBAL__N_141elementwise_kernel_with_index_grid_strideIlZZZN2at6native14range_cuda_outERKN3c106ScalarES6_S6_RNS1_6TensorEENKUlvE_clEvENKUlvE5_clEvEUllE_EEvT_T0_PN15function_traitsISD_E11result_typeE,"axG",@progbits,_ZN12_GLOBAL__N_141elementwise_kernel_with_index_grid_strideIlZZZN2at6native14range_cuda_outERKN3c106ScalarES6_S6_RNS1_6TensorEENKUlvE_clEvENKUlvE5_clEvEUllE_EEvT_T0_PN15function_traitsISD_E11result_typeE,comdat
.Lfunc_end59:
	.size	_ZN12_GLOBAL__N_141elementwise_kernel_with_index_grid_strideIlZZZN2at6native14range_cuda_outERKN3c106ScalarES6_S6_RNS1_6TensorEENKUlvE_clEvENKUlvE5_clEvEUllE_EEvT_T0_PN15function_traitsISD_E11result_typeE, .Lfunc_end59-_ZN12_GLOBAL__N_141elementwise_kernel_with_index_grid_strideIlZZZN2at6native14range_cuda_outERKN3c106ScalarES6_S6_RNS1_6TensorEENKUlvE_clEvENKUlvE5_clEvEUllE_EEvT_T0_PN15function_traitsISD_E11result_typeE
                                        ; -- End function
	.set _ZN12_GLOBAL__N_141elementwise_kernel_with_index_grid_strideIlZZZN2at6native14range_cuda_outERKN3c106ScalarES6_S6_RNS1_6TensorEENKUlvE_clEvENKUlvE5_clEvEUllE_EEvT_T0_PN15function_traitsISD_E11result_typeE.num_vgpr, 7
	.set _ZN12_GLOBAL__N_141elementwise_kernel_with_index_grid_strideIlZZZN2at6native14range_cuda_outERKN3c106ScalarES6_S6_RNS1_6TensorEENKUlvE_clEvENKUlvE5_clEvEUllE_EEvT_T0_PN15function_traitsISD_E11result_typeE.num_agpr, 0
	.set _ZN12_GLOBAL__N_141elementwise_kernel_with_index_grid_strideIlZZZN2at6native14range_cuda_outERKN3c106ScalarES6_S6_RNS1_6TensorEENKUlvE_clEvENKUlvE5_clEvEUllE_EEvT_T0_PN15function_traitsISD_E11result_typeE.numbered_sgpr, 10
	.set _ZN12_GLOBAL__N_141elementwise_kernel_with_index_grid_strideIlZZZN2at6native14range_cuda_outERKN3c106ScalarES6_S6_RNS1_6TensorEENKUlvE_clEvENKUlvE5_clEvEUllE_EEvT_T0_PN15function_traitsISD_E11result_typeE.num_named_barrier, 0
	.set _ZN12_GLOBAL__N_141elementwise_kernel_with_index_grid_strideIlZZZN2at6native14range_cuda_outERKN3c106ScalarES6_S6_RNS1_6TensorEENKUlvE_clEvENKUlvE5_clEvEUllE_EEvT_T0_PN15function_traitsISD_E11result_typeE.private_seg_size, 0
	.set _ZN12_GLOBAL__N_141elementwise_kernel_with_index_grid_strideIlZZZN2at6native14range_cuda_outERKN3c106ScalarES6_S6_RNS1_6TensorEENKUlvE_clEvENKUlvE5_clEvEUllE_EEvT_T0_PN15function_traitsISD_E11result_typeE.uses_vcc, 1
	.set _ZN12_GLOBAL__N_141elementwise_kernel_with_index_grid_strideIlZZZN2at6native14range_cuda_outERKN3c106ScalarES6_S6_RNS1_6TensorEENKUlvE_clEvENKUlvE5_clEvEUllE_EEvT_T0_PN15function_traitsISD_E11result_typeE.uses_flat_scratch, 0
	.set _ZN12_GLOBAL__N_141elementwise_kernel_with_index_grid_strideIlZZZN2at6native14range_cuda_outERKN3c106ScalarES6_S6_RNS1_6TensorEENKUlvE_clEvENKUlvE5_clEvEUllE_EEvT_T0_PN15function_traitsISD_E11result_typeE.has_dyn_sized_stack, 0
	.set _ZN12_GLOBAL__N_141elementwise_kernel_with_index_grid_strideIlZZZN2at6native14range_cuda_outERKN3c106ScalarES6_S6_RNS1_6TensorEENKUlvE_clEvENKUlvE5_clEvEUllE_EEvT_T0_PN15function_traitsISD_E11result_typeE.has_recursion, 0
	.set _ZN12_GLOBAL__N_141elementwise_kernel_with_index_grid_strideIlZZZN2at6native14range_cuda_outERKN3c106ScalarES6_S6_RNS1_6TensorEENKUlvE_clEvENKUlvE5_clEvEUllE_EEvT_T0_PN15function_traitsISD_E11result_typeE.has_indirect_call, 0
	.section	.AMDGPU.csdata,"",@progbits
; Kernel info:
; codeLenInByte = 236
; TotalNumSgprs: 12
; NumVgprs: 7
; ScratchSize: 0
; MemoryBound: 0
; FloatMode: 240
; IeeeMode: 1
; LDSByteSize: 0 bytes/workgroup (compile time only)
; SGPRBlocks: 0
; VGPRBlocks: 0
; NumSGPRsForWavesPerEU: 12
; NumVGPRsForWavesPerEU: 7
; Occupancy: 16
; WaveLimiterHint : 0
; COMPUTE_PGM_RSRC2:SCRATCH_EN: 0
; COMPUTE_PGM_RSRC2:USER_SGPR: 6
; COMPUTE_PGM_RSRC2:TRAP_HANDLER: 0
; COMPUTE_PGM_RSRC2:TGID_X_EN: 1
; COMPUTE_PGM_RSRC2:TGID_Y_EN: 0
; COMPUTE_PGM_RSRC2:TGID_Z_EN: 0
; COMPUTE_PGM_RSRC2:TIDIG_COMP_CNT: 0
	.section	.text._ZN12_GLOBAL__N_141elementwise_kernel_with_index_grid_strideIiZZZN2at6native14range_cuda_outERKN3c106ScalarES6_S6_RNS1_6TensorEENKUlvE_clEvENKUlvE6_clEvEUllE_EEvT_T0_PN15function_traitsISD_E11result_typeE,"axG",@progbits,_ZN12_GLOBAL__N_141elementwise_kernel_with_index_grid_strideIiZZZN2at6native14range_cuda_outERKN3c106ScalarES6_S6_RNS1_6TensorEENKUlvE_clEvENKUlvE6_clEvEUllE_EEvT_T0_PN15function_traitsISD_E11result_typeE,comdat
	.globl	_ZN12_GLOBAL__N_141elementwise_kernel_with_index_grid_strideIiZZZN2at6native14range_cuda_outERKN3c106ScalarES6_S6_RNS1_6TensorEENKUlvE_clEvENKUlvE6_clEvEUllE_EEvT_T0_PN15function_traitsISD_E11result_typeE ; -- Begin function _ZN12_GLOBAL__N_141elementwise_kernel_with_index_grid_strideIiZZZN2at6native14range_cuda_outERKN3c106ScalarES6_S6_RNS1_6TensorEENKUlvE_clEvENKUlvE6_clEvEUllE_EEvT_T0_PN15function_traitsISD_E11result_typeE
	.p2align	8
	.type	_ZN12_GLOBAL__N_141elementwise_kernel_with_index_grid_strideIiZZZN2at6native14range_cuda_outERKN3c106ScalarES6_S6_RNS1_6TensorEENKUlvE_clEvENKUlvE6_clEvEUllE_EEvT_T0_PN15function_traitsISD_E11result_typeE,@function
_ZN12_GLOBAL__N_141elementwise_kernel_with_index_grid_strideIiZZZN2at6native14range_cuda_outERKN3c106ScalarES6_S6_RNS1_6TensorEENKUlvE_clEvENKUlvE6_clEvEUllE_EEvT_T0_PN15function_traitsISD_E11result_typeE: ; @_ZN12_GLOBAL__N_141elementwise_kernel_with_index_grid_strideIiZZZN2at6native14range_cuda_outERKN3c106ScalarES6_S6_RNS1_6TensorEENKUlvE_clEvENKUlvE6_clEvEUllE_EEvT_T0_PN15function_traitsISD_E11result_typeE
; %bb.0:
	s_clause 0x1
	s_load_dword s2, s[4:5], 0x24
	s_load_dwordx4 s[8:11], s[4:5], 0x0
	s_add_u32 s0, s4, 24
	s_addc_u32 s1, s5, 0
	s_waitcnt lgkmcnt(0)
	s_and_b32 s3, s2, 0xffff
	s_mov_b32 s2, exec_lo
	v_mad_u64_u32 v[1:2], null, s6, s3, v[0:1]
	v_cmpx_gt_i32_e64 s8, v1
	s_cbranch_execz .LBB60_8
; %bb.1:
	s_load_dword s0, s[0:1], 0x0
	s_load_dwordx2 s[4:5], s[4:5], 0x10
	s_waitcnt lgkmcnt(0)
	s_mul_i32 s2, s0, s3
	s_add_i32 s0, s6, s0
	v_cvt_f32_u32_e32 v2, s2
	s_sub_i32 s1, 0, s2
	s_mul_i32 s0, s0, s3
	s_mov_b32 s3, 0
	v_add_nc_u32_e32 v4, s0, v0
	v_rcp_iflag_f32_e32 v2, v2
	v_cmp_gt_i32_e32 vcc_lo, s8, v4
	v_max_i32_e32 v5, s8, v4
	v_add_co_ci_u32_e64 v0, null, s0, v0, vcc_lo
	v_mul_f32_e32 v2, 0x4f7ffffe, v2
	v_sub_nc_u32_e32 v0, v5, v0
	v_cvt_u32_f32_e32 v2, v2
	v_mul_lo_u32 v3, s1, v2
	s_mov_b32 s1, exec_lo
	v_mul_hi_u32 v3, v2, v3
	v_add_nc_u32_e32 v2, v2, v3
	v_mul_hi_u32 v2, v0, v2
	v_mul_lo_u32 v3, v2, s2
	v_sub_nc_u32_e32 v0, v0, v3
	v_add_nc_u32_e32 v3, 1, v2
	v_subrev_nc_u32_e32 v4, s2, v0
	v_cmp_le_u32_e64 s0, s2, v0
	v_cndmask_b32_e64 v2, v2, v3, s0
	v_cndmask_b32_e64 v0, v0, v4, s0
	v_add_nc_u32_e32 v3, 1, v2
	v_cmp_le_u32_e64 s0, s2, v0
	v_cndmask_b32_e64 v0, v2, v3, s0
	s_mov_b32 s0, -1
	v_add_co_ci_u32_e64 v0, null, 1, v0, vcc_lo
	v_cmpx_lt_u32_e32 1, v0
	s_cbranch_execz .LBB60_5
; %bb.2:
	v_add_nc_u32_e32 v2, s2, v1
	v_and_b32_e32 v4, -2, v0
	s_lshl_b32 s11, s2, 1
	s_mov_b32 s6, s10
	s_mov_b32 s7, s9
	v_mov_b32_e32 v3, v2
	v_mov_b32_e32 v5, v4
	;; [unrolled: 1-line block ×3, first 2 shown]
	s_mov_b32 s12, s9
	s_mov_b32 s13, s11
	s_inst_prefetch 0x1
	.p2align	6
.LBB60_3:                               ; =>This Inner Loop Header: Depth=1
	v_ashrrev_i32_e32 v9, 31, v2
	v_mov_b32_e32 v8, v2
	v_ashrrev_i32_e32 v7, 31, v3
	v_mov_b32_e32 v6, v3
	v_add_nc_u32_e32 v5, -2, v5
	v_cvt_f32_i32_e32 v11, v2
	v_lshlrev_b64 v[8:9], 1, v[8:9]
	v_cvt_f32_i32_e32 v10, v3
	v_lshlrev_b64 v[6:7], 1, v[6:7]
	v_cmp_eq_u32_e32 vcc_lo, 0, v5
	v_add_nc_u32_e32 v3, s13, v3
	v_fma_mixlo_f16 v11, s10, v11, s7
	v_add_co_u32 v8, s0, s4, v8
	v_add_co_ci_u32_e64 v9, null, s5, v9, s0
	v_add_co_u32 v6, s0, s4, v6
	v_add_nc_u32_e32 v2, s11, v2
	v_fma_mixlo_f16 v10, s6, v10, s12
	v_add_co_ci_u32_e64 v7, null, s5, v7, s0
	s_or_b32 s3, vcc_lo, s3
	global_store_short v[8:9], v11, off
	global_store_short v[6:7], v10, off
	s_andn2_b32 exec_lo, exec_lo, s3
	s_cbranch_execnz .LBB60_3
; %bb.4:
	s_inst_prefetch 0x2
	s_or_b32 exec_lo, exec_lo, s3
	v_mad_u64_u32 v[1:2], null, v4, s2, v[1:2]
	v_cmp_ne_u32_e32 vcc_lo, v0, v4
	s_orn2_b32 s0, vcc_lo, exec_lo
.LBB60_5:
	s_or_b32 exec_lo, exec_lo, s1
	s_and_b32 exec_lo, exec_lo, s0
	s_cbranch_execz .LBB60_8
; %bb.6:
	v_ashrrev_i32_e32 v2, 31, v1
	s_ashr_i32 s3, s2, 31
	s_mov_b32 s1, 0
	v_lshlrev_b64 v[2:3], 1, v[1:2]
	v_add_co_u32 v2, vcc_lo, s4, v2
	v_add_co_ci_u32_e64 v3, null, s5, v3, vcc_lo
	s_lshl_b64 s[4:5], s[2:3], 1
.LBB60_7:                               ; =>This Inner Loop Header: Depth=1
	v_cvt_f32_i32_e32 v0, v1
	v_add_nc_u32_e32 v1, s2, v1
	v_fma_mixlo_f16 v0, s10, v0, s9
	v_cmp_le_i32_e32 vcc_lo, s8, v1
	global_store_short v[2:3], v0, off
	v_add_co_u32 v2, s0, v2, s4
	v_add_co_ci_u32_e64 v3, null, s5, v3, s0
	s_or_b32 s1, vcc_lo, s1
	s_andn2_b32 exec_lo, exec_lo, s1
	s_cbranch_execnz .LBB60_7
.LBB60_8:
	s_endpgm
	.section	.rodata,"a",@progbits
	.p2align	6, 0x0
	.amdhsa_kernel _ZN12_GLOBAL__N_141elementwise_kernel_with_index_grid_strideIiZZZN2at6native14range_cuda_outERKN3c106ScalarES6_S6_RNS1_6TensorEENKUlvE_clEvENKUlvE6_clEvEUllE_EEvT_T0_PN15function_traitsISD_E11result_typeE
		.amdhsa_group_segment_fixed_size 0
		.amdhsa_private_segment_fixed_size 0
		.amdhsa_kernarg_size 280
		.amdhsa_user_sgpr_count 6
		.amdhsa_user_sgpr_private_segment_buffer 1
		.amdhsa_user_sgpr_dispatch_ptr 0
		.amdhsa_user_sgpr_queue_ptr 0
		.amdhsa_user_sgpr_kernarg_segment_ptr 1
		.amdhsa_user_sgpr_dispatch_id 0
		.amdhsa_user_sgpr_flat_scratch_init 0
		.amdhsa_user_sgpr_private_segment_size 0
		.amdhsa_wavefront_size32 1
		.amdhsa_uses_dynamic_stack 0
		.amdhsa_system_sgpr_private_segment_wavefront_offset 0
		.amdhsa_system_sgpr_workgroup_id_x 1
		.amdhsa_system_sgpr_workgroup_id_y 0
		.amdhsa_system_sgpr_workgroup_id_z 0
		.amdhsa_system_sgpr_workgroup_info 0
		.amdhsa_system_vgpr_workitem_id 0
		.amdhsa_next_free_vgpr 12
		.amdhsa_next_free_sgpr 14
		.amdhsa_reserve_vcc 1
		.amdhsa_reserve_flat_scratch 0
		.amdhsa_float_round_mode_32 0
		.amdhsa_float_round_mode_16_64 0
		.amdhsa_float_denorm_mode_32 3
		.amdhsa_float_denorm_mode_16_64 3
		.amdhsa_dx10_clamp 1
		.amdhsa_ieee_mode 1
		.amdhsa_fp16_overflow 0
		.amdhsa_workgroup_processor_mode 1
		.amdhsa_memory_ordered 1
		.amdhsa_forward_progress 1
		.amdhsa_shared_vgpr_count 0
		.amdhsa_exception_fp_ieee_invalid_op 0
		.amdhsa_exception_fp_denorm_src 0
		.amdhsa_exception_fp_ieee_div_zero 0
		.amdhsa_exception_fp_ieee_overflow 0
		.amdhsa_exception_fp_ieee_underflow 0
		.amdhsa_exception_fp_ieee_inexact 0
		.amdhsa_exception_int_div_zero 0
	.end_amdhsa_kernel
	.section	.text._ZN12_GLOBAL__N_141elementwise_kernel_with_index_grid_strideIiZZZN2at6native14range_cuda_outERKN3c106ScalarES6_S6_RNS1_6TensorEENKUlvE_clEvENKUlvE6_clEvEUllE_EEvT_T0_PN15function_traitsISD_E11result_typeE,"axG",@progbits,_ZN12_GLOBAL__N_141elementwise_kernel_with_index_grid_strideIiZZZN2at6native14range_cuda_outERKN3c106ScalarES6_S6_RNS1_6TensorEENKUlvE_clEvENKUlvE6_clEvEUllE_EEvT_T0_PN15function_traitsISD_E11result_typeE,comdat
.Lfunc_end60:
	.size	_ZN12_GLOBAL__N_141elementwise_kernel_with_index_grid_strideIiZZZN2at6native14range_cuda_outERKN3c106ScalarES6_S6_RNS1_6TensorEENKUlvE_clEvENKUlvE6_clEvEUllE_EEvT_T0_PN15function_traitsISD_E11result_typeE, .Lfunc_end60-_ZN12_GLOBAL__N_141elementwise_kernel_with_index_grid_strideIiZZZN2at6native14range_cuda_outERKN3c106ScalarES6_S6_RNS1_6TensorEENKUlvE_clEvENKUlvE6_clEvEUllE_EEvT_T0_PN15function_traitsISD_E11result_typeE
                                        ; -- End function
	.set _ZN12_GLOBAL__N_141elementwise_kernel_with_index_grid_strideIiZZZN2at6native14range_cuda_outERKN3c106ScalarES6_S6_RNS1_6TensorEENKUlvE_clEvENKUlvE6_clEvEUllE_EEvT_T0_PN15function_traitsISD_E11result_typeE.num_vgpr, 12
	.set _ZN12_GLOBAL__N_141elementwise_kernel_with_index_grid_strideIiZZZN2at6native14range_cuda_outERKN3c106ScalarES6_S6_RNS1_6TensorEENKUlvE_clEvENKUlvE6_clEvEUllE_EEvT_T0_PN15function_traitsISD_E11result_typeE.num_agpr, 0
	.set _ZN12_GLOBAL__N_141elementwise_kernel_with_index_grid_strideIiZZZN2at6native14range_cuda_outERKN3c106ScalarES6_S6_RNS1_6TensorEENKUlvE_clEvENKUlvE6_clEvEUllE_EEvT_T0_PN15function_traitsISD_E11result_typeE.numbered_sgpr, 14
	.set _ZN12_GLOBAL__N_141elementwise_kernel_with_index_grid_strideIiZZZN2at6native14range_cuda_outERKN3c106ScalarES6_S6_RNS1_6TensorEENKUlvE_clEvENKUlvE6_clEvEUllE_EEvT_T0_PN15function_traitsISD_E11result_typeE.num_named_barrier, 0
	.set _ZN12_GLOBAL__N_141elementwise_kernel_with_index_grid_strideIiZZZN2at6native14range_cuda_outERKN3c106ScalarES6_S6_RNS1_6TensorEENKUlvE_clEvENKUlvE6_clEvEUllE_EEvT_T0_PN15function_traitsISD_E11result_typeE.private_seg_size, 0
	.set _ZN12_GLOBAL__N_141elementwise_kernel_with_index_grid_strideIiZZZN2at6native14range_cuda_outERKN3c106ScalarES6_S6_RNS1_6TensorEENKUlvE_clEvENKUlvE6_clEvEUllE_EEvT_T0_PN15function_traitsISD_E11result_typeE.uses_vcc, 1
	.set _ZN12_GLOBAL__N_141elementwise_kernel_with_index_grid_strideIiZZZN2at6native14range_cuda_outERKN3c106ScalarES6_S6_RNS1_6TensorEENKUlvE_clEvENKUlvE6_clEvEUllE_EEvT_T0_PN15function_traitsISD_E11result_typeE.uses_flat_scratch, 0
	.set _ZN12_GLOBAL__N_141elementwise_kernel_with_index_grid_strideIiZZZN2at6native14range_cuda_outERKN3c106ScalarES6_S6_RNS1_6TensorEENKUlvE_clEvENKUlvE6_clEvEUllE_EEvT_T0_PN15function_traitsISD_E11result_typeE.has_dyn_sized_stack, 0
	.set _ZN12_GLOBAL__N_141elementwise_kernel_with_index_grid_strideIiZZZN2at6native14range_cuda_outERKN3c106ScalarES6_S6_RNS1_6TensorEENKUlvE_clEvENKUlvE6_clEvEUllE_EEvT_T0_PN15function_traitsISD_E11result_typeE.has_recursion, 0
	.set _ZN12_GLOBAL__N_141elementwise_kernel_with_index_grid_strideIiZZZN2at6native14range_cuda_outERKN3c106ScalarES6_S6_RNS1_6TensorEENKUlvE_clEvENKUlvE6_clEvEUllE_EEvT_T0_PN15function_traitsISD_E11result_typeE.has_indirect_call, 0
	.section	.AMDGPU.csdata,"",@progbits
; Kernel info:
; codeLenInByte = 588
; TotalNumSgprs: 16
; NumVgprs: 12
; ScratchSize: 0
; MemoryBound: 0
; FloatMode: 240
; IeeeMode: 1
; LDSByteSize: 0 bytes/workgroup (compile time only)
; SGPRBlocks: 0
; VGPRBlocks: 1
; NumSGPRsForWavesPerEU: 16
; NumVGPRsForWavesPerEU: 12
; Occupancy: 16
; WaveLimiterHint : 0
; COMPUTE_PGM_RSRC2:SCRATCH_EN: 0
; COMPUTE_PGM_RSRC2:USER_SGPR: 6
; COMPUTE_PGM_RSRC2:TRAP_HANDLER: 0
; COMPUTE_PGM_RSRC2:TGID_X_EN: 1
; COMPUTE_PGM_RSRC2:TGID_Y_EN: 0
; COMPUTE_PGM_RSRC2:TGID_Z_EN: 0
; COMPUTE_PGM_RSRC2:TIDIG_COMP_CNT: 0
	.section	.text._ZN12_GLOBAL__N_141elementwise_kernel_with_index_grid_strideIlZZZN2at6native14range_cuda_outERKN3c106ScalarES6_S6_RNS1_6TensorEENKUlvE_clEvENKUlvE6_clEvEUllE_EEvT_T0_PN15function_traitsISD_E11result_typeE,"axG",@progbits,_ZN12_GLOBAL__N_141elementwise_kernel_with_index_grid_strideIlZZZN2at6native14range_cuda_outERKN3c106ScalarES6_S6_RNS1_6TensorEENKUlvE_clEvENKUlvE6_clEvEUllE_EEvT_T0_PN15function_traitsISD_E11result_typeE,comdat
	.globl	_ZN12_GLOBAL__N_141elementwise_kernel_with_index_grid_strideIlZZZN2at6native14range_cuda_outERKN3c106ScalarES6_S6_RNS1_6TensorEENKUlvE_clEvENKUlvE6_clEvEUllE_EEvT_T0_PN15function_traitsISD_E11result_typeE ; -- Begin function _ZN12_GLOBAL__N_141elementwise_kernel_with_index_grid_strideIlZZZN2at6native14range_cuda_outERKN3c106ScalarES6_S6_RNS1_6TensorEENKUlvE_clEvENKUlvE6_clEvEUllE_EEvT_T0_PN15function_traitsISD_E11result_typeE
	.p2align	8
	.type	_ZN12_GLOBAL__N_141elementwise_kernel_with_index_grid_strideIlZZZN2at6native14range_cuda_outERKN3c106ScalarES6_S6_RNS1_6TensorEENKUlvE_clEvENKUlvE6_clEvEUllE_EEvT_T0_PN15function_traitsISD_E11result_typeE,@function
_ZN12_GLOBAL__N_141elementwise_kernel_with_index_grid_strideIlZZZN2at6native14range_cuda_outERKN3c106ScalarES6_S6_RNS1_6TensorEENKUlvE_clEvENKUlvE6_clEvEUllE_EEvT_T0_PN15function_traitsISD_E11result_typeE: ; @_ZN12_GLOBAL__N_141elementwise_kernel_with_index_grid_strideIlZZZN2at6native14range_cuda_outERKN3c106ScalarES6_S6_RNS1_6TensorEENKUlvE_clEvENKUlvE6_clEvEUllE_EEvT_T0_PN15function_traitsISD_E11result_typeE
; %bb.0:
	s_clause 0x1
	s_load_dword s7, s[4:5], 0x24
	s_load_dwordx2 s[2:3], s[4:5], 0x0
	v_mov_b32_e32 v1, 0
	s_add_u32 s0, s4, 24
	s_addc_u32 s1, s5, 0
	s_waitcnt lgkmcnt(0)
	s_and_b32 s8, s7, 0xffff
	s_mov_b32 s7, exec_lo
	v_mad_u64_u32 v[2:3], null, s8, s6, v[0:1]
	v_cmpx_gt_i64_e64 s[2:3], v[2:3]
	s_cbranch_execz .LBB61_14
; %bb.1:
	s_load_dword s0, s[0:1], 0x0
	s_waitcnt lgkmcnt(0)
	s_add_u32 s1, s6, s0
	s_load_dwordx2 s[6:7], s[4:5], 0x8
	v_mad_u64_u32 v[5:6], null, s1, s8, v[0:1]
	s_addc_u32 s1, 0, 0
	s_mul_hi_u32 s9, s8, s0
	v_mov_b32_e32 v0, v6
	v_mad_u64_u32 v[7:8], null, s1, s8, v[0:1]
	s_mul_i32 s8, s8, s0
	s_mov_b32 s0, exec_lo
	v_mov_b32_e32 v6, v7
	v_cmp_gt_i64_e32 vcc_lo, s[2:3], v[5:6]
	v_cndmask_b32_e64 v4, 0, 1, vcc_lo
	v_cndmask_b32_e64 v0, v7, s3, vcc_lo
	;; [unrolled: 1-line block ×3, first 2 shown]
	v_add_co_u32 v5, vcc_lo, v5, v4
	v_add_co_ci_u32_e64 v7, null, 0, v7, vcc_lo
	v_sub_co_u32 v5, vcc_lo, v6, v5
	v_sub_co_ci_u32_e64 v6, null, v0, v7, vcc_lo
	v_mov_b32_e32 v7, v1
                                        ; implicit-def: $vgpr0_vgpr1
	v_or_b32_e32 v8, s9, v6
	v_cmpx_ne_u64_e32 0, v[7:8]
	s_xor_b32 s1, exec_lo, s0
	s_cbranch_execz .LBB61_3
; %bb.2:
	v_cvt_f32_u32_e32 v0, s8
	v_cvt_f32_u32_e32 v1, s9
	s_sub_u32 s11, 0, s8
	s_subb_u32 s12, 0, s9
	v_fmamk_f32 v0, v1, 0x4f800000, v0
	v_rcp_f32_e32 v0, v0
	v_mul_f32_e32 v0, 0x5f7ffffc, v0
	v_mul_f32_e32 v1, 0x2f800000, v0
	v_trunc_f32_e32 v1, v1
	v_fmamk_f32 v0, v1, 0xcf800000, v0
	v_cvt_u32_f32_e32 v1, v1
	v_cvt_u32_f32_e32 v0, v0
	v_readfirstlane_b32 s0, v1
	v_readfirstlane_b32 s10, v0
	s_mul_i32 s13, s11, s0
	s_mul_hi_u32 s15, s11, s10
	s_mul_i32 s14, s12, s10
	s_add_i32 s13, s15, s13
	s_mul_i32 s16, s11, s10
	s_add_i32 s13, s13, s14
	s_mul_hi_u32 s15, s10, s16
	s_mul_i32 s18, s10, s13
	s_mul_hi_u32 s17, s0, s16
	s_mul_i32 s14, s0, s16
	s_mul_hi_u32 s16, s10, s13
	s_add_u32 s15, s15, s18
	s_addc_u32 s16, 0, s16
	s_mul_hi_u32 s19, s0, s13
	s_add_u32 s14, s15, s14
	s_mul_i32 s13, s0, s13
	s_addc_u32 s14, s16, s17
	s_addc_u32 s15, s19, 0
	s_add_u32 s13, s14, s13
	s_addc_u32 s14, 0, s15
	s_add_u32 s10, s10, s13
	s_cselect_b32 s13, -1, 0
	s_mul_hi_u32 s15, s11, s10
	s_cmp_lg_u32 s13, 0
	s_mul_i32 s13, s11, s10
	s_addc_u32 s0, s0, s14
	s_mul_i32 s12, s12, s10
	s_mul_i32 s11, s11, s0
	s_mul_hi_u32 s14, s10, s13
	s_add_i32 s11, s15, s11
	s_mul_hi_u32 s15, s0, s13
	s_add_i32 s11, s11, s12
	s_mul_i32 s12, s0, s13
	s_mul_i32 s17, s10, s11
	s_mul_hi_u32 s16, s10, s11
	s_add_u32 s14, s14, s17
	s_addc_u32 s16, 0, s16
	s_mul_hi_u32 s13, s0, s11
	s_add_u32 s12, s14, s12
	s_mul_i32 s11, s0, s11
	s_addc_u32 s12, s16, s15
	s_addc_u32 s13, s13, 0
	s_add_u32 s11, s12, s11
	s_addc_u32 s12, 0, s13
	s_add_u32 s10, s10, s11
	s_cselect_b32 s11, -1, 0
	v_mul_hi_u32 v11, v5, s10
	s_cmp_lg_u32 s11, 0
	v_mad_u64_u32 v[7:8], null, v6, s10, 0
	s_addc_u32 s0, s0, s12
	v_mad_u64_u32 v[0:1], null, v5, s0, 0
	v_mad_u64_u32 v[9:10], null, v6, s0, 0
	v_add_co_u32 v0, vcc_lo, v11, v0
	v_add_co_ci_u32_e64 v1, null, 0, v1, vcc_lo
	v_add_co_u32 v0, vcc_lo, v0, v7
	v_add_co_ci_u32_e32 v0, vcc_lo, v1, v8, vcc_lo
	v_add_co_ci_u32_e32 v1, vcc_lo, 0, v10, vcc_lo
	v_add_co_u32 v7, vcc_lo, v0, v9
	v_add_co_ci_u32_e64 v8, null, 0, v1, vcc_lo
	v_mul_lo_u32 v9, s9, v7
	v_mad_u64_u32 v[0:1], null, s8, v7, 0
	v_mul_lo_u32 v10, s8, v8
	v_sub_co_u32 v0, vcc_lo, v5, v0
	v_add3_u32 v1, v1, v10, v9
	v_sub_nc_u32_e32 v9, v6, v1
	v_sub_co_ci_u32_e64 v1, null, v6, v1, vcc_lo
	v_subrev_co_ci_u32_e64 v5, null, s9, v9, vcc_lo
	v_add_co_u32 v9, s0, v7, 2
	v_add_co_ci_u32_e64 v10, null, 0, v8, s0
	v_sub_co_u32 v11, s0, v0, s8
	v_subrev_co_ci_u32_e64 v5, null, 0, v5, s0
	v_cmp_eq_u32_e64 s0, s9, v1
	v_cmp_le_u32_e32 vcc_lo, s8, v11
	v_cndmask_b32_e64 v6, 0, -1, vcc_lo
	v_cmp_le_u32_e32 vcc_lo, s9, v5
	v_cndmask_b32_e64 v11, 0, -1, vcc_lo
	;; [unrolled: 2-line block ×4, first 2 shown]
	v_cmp_eq_u32_e32 vcc_lo, s9, v5
	v_cndmask_b32_e64 v0, v12, v0, s0
	v_cndmask_b32_e32 v5, v11, v6, vcc_lo
	v_add_co_u32 v6, vcc_lo, v7, 1
	v_add_co_ci_u32_e64 v11, null, 0, v8, vcc_lo
	v_cmp_ne_u32_e32 vcc_lo, 0, v5
	v_cndmask_b32_e32 v1, v11, v10, vcc_lo
	v_cndmask_b32_e32 v5, v6, v9, vcc_lo
	v_cmp_ne_u32_e32 vcc_lo, 0, v0
	v_cndmask_b32_e32 v1, v8, v1, vcc_lo
	v_cndmask_b32_e32 v0, v7, v5, vcc_lo
                                        ; implicit-def: $vgpr5
.LBB61_3:
	s_andn2_saveexec_b32 s0, s1
	s_cbranch_execz .LBB61_5
; %bb.4:
	v_cvt_f32_u32_e32 v0, s8
	s_sub_i32 s1, 0, s8
	v_rcp_iflag_f32_e32 v0, v0
	v_mul_f32_e32 v0, 0x4f7ffffe, v0
	v_cvt_u32_f32_e32 v0, v0
	v_mul_lo_u32 v1, s1, v0
	v_mul_hi_u32 v1, v0, v1
	v_add_nc_u32_e32 v0, v0, v1
	v_mul_hi_u32 v0, v5, v0
	v_mul_lo_u32 v1, v0, s8
	v_sub_nc_u32_e32 v1, v5, v1
	v_add_nc_u32_e32 v5, 1, v0
	v_subrev_nc_u32_e32 v6, s8, v1
	v_cmp_le_u32_e32 vcc_lo, s8, v1
	v_cndmask_b32_e32 v1, v1, v6, vcc_lo
	v_cndmask_b32_e32 v0, v0, v5, vcc_lo
	v_cmp_le_u32_e32 vcc_lo, s8, v1
	v_add_nc_u32_e32 v5, 1, v0
	v_mov_b32_e32 v1, 0
	v_cndmask_b32_e32 v0, v0, v5, vcc_lo
.LBB61_5:
	s_or_b32 exec_lo, exec_lo, s0
	s_load_dwordx2 s[4:5], s[4:5], 0x10
	v_add_co_u32 v0, vcc_lo, v0, v4
	v_add_co_ci_u32_e64 v1, null, 0, v1, vcc_lo
	s_mov_b32 s0, 0
	v_add_co_u32 v0, vcc_lo, v0, 1
	v_add_co_ci_u32_e64 v1, null, 0, v1, vcc_lo
	s_mov_b32 s1, exec_lo
                                        ; implicit-def: $vgpr4_vgpr5
	v_cmpx_lt_u64_e32 1, v[0:1]
	s_xor_b32 s1, exec_lo, s1
	s_cbranch_execnz .LBB61_8
; %bb.6:
	s_andn2_saveexec_b32 s1, s1
	s_cbranch_execnz .LBB61_11
.LBB61_7:
	s_or_b32 exec_lo, exec_lo, s1
	s_and_b32 exec_lo, exec_lo, s0
	s_cbranch_execnz .LBB61_12
	s_branch .LBB61_14
.LBB61_8:
	v_lshlrev_b64 v[6:7], 1, v[2:3]
	v_add_co_u32 v4, vcc_lo, v2, s8
	v_mov_b32_e32 v9, v1
	v_add_co_ci_u32_e64 v5, null, s9, v3, vcc_lo
	v_and_b32_e32 v8, -2, v0
	s_waitcnt lgkmcnt(0)
	v_add_co_u32 v10, vcc_lo, s4, v6
	v_add_co_ci_u32_e64 v11, null, s5, v7, vcc_lo
	v_mov_b32_e32 v13, v9
	v_mov_b32_e32 v7, v5
	;; [unrolled: 1-line block ×6, first 2 shown]
	s_lshl_b64 s[10:11], s[8:9], 1
	s_mov_b32 s14, s7
	s_mov_b32 s15, s7
	;; [unrolled: 1-line block ×6, first 2 shown]
	s_lshl_b64 s[12:13], s[8:9], 2
	s_mov_b32 s20, 0
.LBB61_9:                               ; =>This Inner Loop Header: Depth=1
	v_ffbh_u32_e32 v16, v5
	v_ffbh_u32_e32 v17, v7
	v_add_co_u32 v14, vcc_lo, v10, s10
	v_add_co_ci_u32_e64 v15, null, s11, v11, vcc_lo
	v_min_u32_e32 v18, 32, v16
	v_min_u32_e32 v20, 32, v17
	v_add_co_u32 v12, vcc_lo, v12, -2
	v_add_co_ci_u32_e64 v13, null, -1, v13, vcc_lo
	v_lshlrev_b64 v[16:17], v18, v[4:5]
	v_sub_nc_u32_e32 v21, 32, v18
	v_lshlrev_b64 v[18:19], v20, v[6:7]
	v_sub_nc_u32_e32 v20, 32, v20
	v_add_co_u32 v6, s0, v6, s18
	v_min_u32_e32 v16, 1, v16
	v_add_co_ci_u32_e64 v7, null, s19, v7, s0
	v_min_u32_e32 v18, 1, v18
	v_add_co_u32 v4, s0, v4, s10
	v_or_b32_e32 v16, v17, v16
	v_cmp_eq_u64_e32 vcc_lo, 0, v[12:13]
	v_or_b32_e32 v17, v19, v18
	v_add_co_ci_u32_e64 v5, null, s11, v5, s0
	v_cvt_f32_u32_e32 v16, v16
	v_cvt_f32_u32_e32 v17, v17
	s_or_b32 s20, vcc_lo, s20
	v_ldexp_f32 v16, v16, v21
	v_ldexp_f32 v17, v17, v20
	v_fma_mixlo_f16 v16, s14, v16, s16
	v_fma_mixlo_f16 v17, s15, v17, s17
	global_store_short v[10:11], v16, off
	v_add_co_u32 v10, s0, v10, s12
	v_add_co_ci_u32_e64 v11, null, s13, v11, s0
	global_store_short v[14:15], v17, off
	s_andn2_b32 exec_lo, exec_lo, s20
	s_cbranch_execnz .LBB61_9
; %bb.10:
	s_or_b32 exec_lo, exec_lo, s20
	v_mad_u64_u32 v[2:3], null, v8, s8, v[2:3]
	v_mul_lo_u32 v4, v8, s9
	v_mul_lo_u32 v5, v9, s8
	v_cmp_ne_u64_e32 vcc_lo, v[0:1], v[8:9]
	s_and_b32 s0, vcc_lo, exec_lo
	v_add3_u32 v3, v5, v3, v4
	v_mov_b32_e32 v4, s10
	v_mov_b32_e32 v5, s11
	s_andn2_saveexec_b32 s1, s1
	s_cbranch_execz .LBB61_7
.LBB61_11:
	s_lshl_b64 s[10:11], s[8:9], 1
	s_or_b32 s0, s0, exec_lo
	v_mov_b32_e32 v4, s10
	v_mov_b32_e32 v5, s11
	s_or_b32 exec_lo, exec_lo, s1
	s_and_b32 exec_lo, exec_lo, s0
	s_cbranch_execz .LBB61_14
.LBB61_12:
	v_lshlrev_b64 v[0:1], 1, v[2:3]
	s_mov_b32 s1, 0
	s_waitcnt lgkmcnt(0)
	v_add_co_u32 v0, vcc_lo, s4, v0
	v_add_co_ci_u32_e64 v1, null, s5, v1, vcc_lo
	.p2align	6
.LBB61_13:                              ; =>This Inner Loop Header: Depth=1
	v_ffbh_u32_e32 v6, v3
	v_min_u32_e32 v8, 32, v6
	v_lshlrev_b64 v[6:7], v8, v[2:3]
	v_sub_nc_u32_e32 v8, 32, v8
	v_add_co_u32 v2, vcc_lo, v2, s8
	v_add_co_ci_u32_e64 v3, null, s9, v3, vcc_lo
	v_min_u32_e32 v6, 1, v6
	v_cmp_le_i64_e32 vcc_lo, s[2:3], v[2:3]
	v_or_b32_e32 v6, v7, v6
	s_or_b32 s1, vcc_lo, s1
	v_cvt_f32_u32_e32 v6, v6
	v_ldexp_f32 v6, v6, v8
	v_fma_mixlo_f16 v6, s7, v6, s6
	global_store_short v[0:1], v6, off
	v_add_co_u32 v0, s0, v0, v4
	v_add_co_ci_u32_e64 v1, null, v1, v5, s0
	s_andn2_b32 exec_lo, exec_lo, s1
	s_cbranch_execnz .LBB61_13
.LBB61_14:
	s_endpgm
	.section	.rodata,"a",@progbits
	.p2align	6, 0x0
	.amdhsa_kernel _ZN12_GLOBAL__N_141elementwise_kernel_with_index_grid_strideIlZZZN2at6native14range_cuda_outERKN3c106ScalarES6_S6_RNS1_6TensorEENKUlvE_clEvENKUlvE6_clEvEUllE_EEvT_T0_PN15function_traitsISD_E11result_typeE
		.amdhsa_group_segment_fixed_size 0
		.amdhsa_private_segment_fixed_size 0
		.amdhsa_kernarg_size 280
		.amdhsa_user_sgpr_count 6
		.amdhsa_user_sgpr_private_segment_buffer 1
		.amdhsa_user_sgpr_dispatch_ptr 0
		.amdhsa_user_sgpr_queue_ptr 0
		.amdhsa_user_sgpr_kernarg_segment_ptr 1
		.amdhsa_user_sgpr_dispatch_id 0
		.amdhsa_user_sgpr_flat_scratch_init 0
		.amdhsa_user_sgpr_private_segment_size 0
		.amdhsa_wavefront_size32 1
		.amdhsa_uses_dynamic_stack 0
		.amdhsa_system_sgpr_private_segment_wavefront_offset 0
		.amdhsa_system_sgpr_workgroup_id_x 1
		.amdhsa_system_sgpr_workgroup_id_y 0
		.amdhsa_system_sgpr_workgroup_id_z 0
		.amdhsa_system_sgpr_workgroup_info 0
		.amdhsa_system_vgpr_workitem_id 0
		.amdhsa_next_free_vgpr 22
		.amdhsa_next_free_sgpr 21
		.amdhsa_reserve_vcc 1
		.amdhsa_reserve_flat_scratch 0
		.amdhsa_float_round_mode_32 0
		.amdhsa_float_round_mode_16_64 0
		.amdhsa_float_denorm_mode_32 3
		.amdhsa_float_denorm_mode_16_64 3
		.amdhsa_dx10_clamp 1
		.amdhsa_ieee_mode 1
		.amdhsa_fp16_overflow 0
		.amdhsa_workgroup_processor_mode 1
		.amdhsa_memory_ordered 1
		.amdhsa_forward_progress 1
		.amdhsa_shared_vgpr_count 0
		.amdhsa_exception_fp_ieee_invalid_op 0
		.amdhsa_exception_fp_denorm_src 0
		.amdhsa_exception_fp_ieee_div_zero 0
		.amdhsa_exception_fp_ieee_overflow 0
		.amdhsa_exception_fp_ieee_underflow 0
		.amdhsa_exception_fp_ieee_inexact 0
		.amdhsa_exception_int_div_zero 0
	.end_amdhsa_kernel
	.section	.text._ZN12_GLOBAL__N_141elementwise_kernel_with_index_grid_strideIlZZZN2at6native14range_cuda_outERKN3c106ScalarES6_S6_RNS1_6TensorEENKUlvE_clEvENKUlvE6_clEvEUllE_EEvT_T0_PN15function_traitsISD_E11result_typeE,"axG",@progbits,_ZN12_GLOBAL__N_141elementwise_kernel_with_index_grid_strideIlZZZN2at6native14range_cuda_outERKN3c106ScalarES6_S6_RNS1_6TensorEENKUlvE_clEvENKUlvE6_clEvEUllE_EEvT_T0_PN15function_traitsISD_E11result_typeE,comdat
.Lfunc_end61:
	.size	_ZN12_GLOBAL__N_141elementwise_kernel_with_index_grid_strideIlZZZN2at6native14range_cuda_outERKN3c106ScalarES6_S6_RNS1_6TensorEENKUlvE_clEvENKUlvE6_clEvEUllE_EEvT_T0_PN15function_traitsISD_E11result_typeE, .Lfunc_end61-_ZN12_GLOBAL__N_141elementwise_kernel_with_index_grid_strideIlZZZN2at6native14range_cuda_outERKN3c106ScalarES6_S6_RNS1_6TensorEENKUlvE_clEvENKUlvE6_clEvEUllE_EEvT_T0_PN15function_traitsISD_E11result_typeE
                                        ; -- End function
	.set _ZN12_GLOBAL__N_141elementwise_kernel_with_index_grid_strideIlZZZN2at6native14range_cuda_outERKN3c106ScalarES6_S6_RNS1_6TensorEENKUlvE_clEvENKUlvE6_clEvEUllE_EEvT_T0_PN15function_traitsISD_E11result_typeE.num_vgpr, 22
	.set _ZN12_GLOBAL__N_141elementwise_kernel_with_index_grid_strideIlZZZN2at6native14range_cuda_outERKN3c106ScalarES6_S6_RNS1_6TensorEENKUlvE_clEvENKUlvE6_clEvEUllE_EEvT_T0_PN15function_traitsISD_E11result_typeE.num_agpr, 0
	.set _ZN12_GLOBAL__N_141elementwise_kernel_with_index_grid_strideIlZZZN2at6native14range_cuda_outERKN3c106ScalarES6_S6_RNS1_6TensorEENKUlvE_clEvENKUlvE6_clEvEUllE_EEvT_T0_PN15function_traitsISD_E11result_typeE.numbered_sgpr, 21
	.set _ZN12_GLOBAL__N_141elementwise_kernel_with_index_grid_strideIlZZZN2at6native14range_cuda_outERKN3c106ScalarES6_S6_RNS1_6TensorEENKUlvE_clEvENKUlvE6_clEvEUllE_EEvT_T0_PN15function_traitsISD_E11result_typeE.num_named_barrier, 0
	.set _ZN12_GLOBAL__N_141elementwise_kernel_with_index_grid_strideIlZZZN2at6native14range_cuda_outERKN3c106ScalarES6_S6_RNS1_6TensorEENKUlvE_clEvENKUlvE6_clEvEUllE_EEvT_T0_PN15function_traitsISD_E11result_typeE.private_seg_size, 0
	.set _ZN12_GLOBAL__N_141elementwise_kernel_with_index_grid_strideIlZZZN2at6native14range_cuda_outERKN3c106ScalarES6_S6_RNS1_6TensorEENKUlvE_clEvENKUlvE6_clEvEUllE_EEvT_T0_PN15function_traitsISD_E11result_typeE.uses_vcc, 1
	.set _ZN12_GLOBAL__N_141elementwise_kernel_with_index_grid_strideIlZZZN2at6native14range_cuda_outERKN3c106ScalarES6_S6_RNS1_6TensorEENKUlvE_clEvENKUlvE6_clEvEUllE_EEvT_T0_PN15function_traitsISD_E11result_typeE.uses_flat_scratch, 0
	.set _ZN12_GLOBAL__N_141elementwise_kernel_with_index_grid_strideIlZZZN2at6native14range_cuda_outERKN3c106ScalarES6_S6_RNS1_6TensorEENKUlvE_clEvENKUlvE6_clEvEUllE_EEvT_T0_PN15function_traitsISD_E11result_typeE.has_dyn_sized_stack, 0
	.set _ZN12_GLOBAL__N_141elementwise_kernel_with_index_grid_strideIlZZZN2at6native14range_cuda_outERKN3c106ScalarES6_S6_RNS1_6TensorEENKUlvE_clEvENKUlvE6_clEvEUllE_EEvT_T0_PN15function_traitsISD_E11result_typeE.has_recursion, 0
	.set _ZN12_GLOBAL__N_141elementwise_kernel_with_index_grid_strideIlZZZN2at6native14range_cuda_outERKN3c106ScalarES6_S6_RNS1_6TensorEENKUlvE_clEvENKUlvE6_clEvEUllE_EEvT_T0_PN15function_traitsISD_E11result_typeE.has_indirect_call, 0
	.section	.AMDGPU.csdata,"",@progbits
; Kernel info:
; codeLenInByte = 1516
; TotalNumSgprs: 23
; NumVgprs: 22
; ScratchSize: 0
; MemoryBound: 0
; FloatMode: 240
; IeeeMode: 1
; LDSByteSize: 0 bytes/workgroup (compile time only)
; SGPRBlocks: 0
; VGPRBlocks: 2
; NumSGPRsForWavesPerEU: 23
; NumVGPRsForWavesPerEU: 22
; Occupancy: 16
; WaveLimiterHint : 0
; COMPUTE_PGM_RSRC2:SCRATCH_EN: 0
; COMPUTE_PGM_RSRC2:USER_SGPR: 6
; COMPUTE_PGM_RSRC2:TRAP_HANDLER: 0
; COMPUTE_PGM_RSRC2:TGID_X_EN: 1
; COMPUTE_PGM_RSRC2:TGID_Y_EN: 0
; COMPUTE_PGM_RSRC2:TGID_Z_EN: 0
; COMPUTE_PGM_RSRC2:TIDIG_COMP_CNT: 0
	.section	.text._ZN12_GLOBAL__N_141elementwise_kernel_with_index_grid_strideIiZZZN2at6native15arange_cuda_outERKN3c106ScalarES6_S6_RNS1_6TensorEENKUlvE_clEvENKUlvE_clEvEUllE_EEvT_T0_PN15function_traitsISD_E11result_typeE,"axG",@progbits,_ZN12_GLOBAL__N_141elementwise_kernel_with_index_grid_strideIiZZZN2at6native15arange_cuda_outERKN3c106ScalarES6_S6_RNS1_6TensorEENKUlvE_clEvENKUlvE_clEvEUllE_EEvT_T0_PN15function_traitsISD_E11result_typeE,comdat
	.globl	_ZN12_GLOBAL__N_141elementwise_kernel_with_index_grid_strideIiZZZN2at6native15arange_cuda_outERKN3c106ScalarES6_S6_RNS1_6TensorEENKUlvE_clEvENKUlvE_clEvEUllE_EEvT_T0_PN15function_traitsISD_E11result_typeE ; -- Begin function _ZN12_GLOBAL__N_141elementwise_kernel_with_index_grid_strideIiZZZN2at6native15arange_cuda_outERKN3c106ScalarES6_S6_RNS1_6TensorEENKUlvE_clEvENKUlvE_clEvEUllE_EEvT_T0_PN15function_traitsISD_E11result_typeE
	.p2align	8
	.type	_ZN12_GLOBAL__N_141elementwise_kernel_with_index_grid_strideIiZZZN2at6native15arange_cuda_outERKN3c106ScalarES6_S6_RNS1_6TensorEENKUlvE_clEvENKUlvE_clEvEUllE_EEvT_T0_PN15function_traitsISD_E11result_typeE,@function
_ZN12_GLOBAL__N_141elementwise_kernel_with_index_grid_strideIiZZZN2at6native15arange_cuda_outERKN3c106ScalarES6_S6_RNS1_6TensorEENKUlvE_clEvENKUlvE_clEvEUllE_EEvT_T0_PN15function_traitsISD_E11result_typeE: ; @_ZN12_GLOBAL__N_141elementwise_kernel_with_index_grid_strideIiZZZN2at6native15arange_cuda_outERKN3c106ScalarES6_S6_RNS1_6TensorEENKUlvE_clEvENKUlvE_clEvEUllE_EEvT_T0_PN15function_traitsISD_E11result_typeE
; %bb.0:
	s_clause 0x1
	s_load_dword s2, s[4:5], 0x2c
	s_load_dword s3, s[4:5], 0x0
	s_add_u32 s0, s4, 32
	s_addc_u32 s1, s5, 0
	s_mov_b32 s7, exec_lo
	s_waitcnt lgkmcnt(0)
	s_and_b32 s2, s2, 0xffff
	v_mad_u64_u32 v[1:2], null, s6, s2, v[0:1]
	v_cmpx_gt_i32_e64 s3, v1
	s_cbranch_execz .LBB62_8
; %bb.1:
	s_load_dword s0, s[0:1], 0x0
	s_clause 0x1
	s_load_dwordx4 s[8:11], s[4:5], 0x8
	s_load_dwordx2 s[4:5], s[4:5], 0x18
	s_mov_b32 s20, 0
	s_mov_b32 s19, exec_lo
	s_waitcnt lgkmcnt(0)
	s_mul_i32 s18, s0, s2
	s_add_i32 s0, s6, s0
	v_cvt_f32_u32_e32 v2, s18
	s_sub_i32 s1, 0, s18
	s_mul_i32 s0, s0, s2
	v_add_nc_u32_e32 v4, s0, v0
	v_rcp_iflag_f32_e32 v2, v2
	v_cmp_gt_i32_e32 vcc_lo, s3, v4
	v_max_i32_e32 v5, s3, v4
	v_add_co_ci_u32_e64 v0, null, s0, v0, vcc_lo
	v_mul_f32_e32 v2, 0x4f7ffffe, v2
	v_sub_nc_u32_e32 v0, v5, v0
	v_cvt_u32_f32_e32 v2, v2
	v_mul_lo_u32 v3, s1, v2
	v_mul_hi_u32 v3, v2, v3
	v_add_nc_u32_e32 v2, v2, v3
	v_mul_hi_u32 v2, v0, v2
	v_mul_lo_u32 v3, v2, s18
	v_sub_nc_u32_e32 v0, v0, v3
	v_add_nc_u32_e32 v3, 1, v2
	v_subrev_nc_u32_e32 v4, s18, v0
	v_cmp_le_u32_e64 s0, s18, v0
	v_cndmask_b32_e64 v2, v2, v3, s0
	v_cndmask_b32_e64 v0, v0, v4, s0
	v_add_nc_u32_e32 v3, 1, v2
	v_cmp_le_u32_e64 s0, s18, v0
	v_cndmask_b32_e64 v0, v2, v3, s0
	s_mov_b32 s0, -1
	v_add_co_ci_u32_e64 v0, null, 1, v0, vcc_lo
	v_cmpx_lt_u32_e32 3, v0
	s_cbranch_execz .LBB62_5
; %bb.2:
	v_add_nc_u32_e32 v2, s18, v1
	v_and_b32_e32 v6, -4, v0
	v_lshl_add_u32 v3, s18, 1, v1
	s_lshl_b32 s25, s18, 2
	s_mov_b32 s21, s10
	v_mad_u64_u32 v[4:5], null, s18, 3, v[1:2]
	v_mov_b32_e32 v7, v6
	s_mov_b32 s22, s10
	s_mov_b32 s23, s10
	s_mov_b32 s24, s10
	s_mov_b32 s6, s8
	s_mov_b32 s7, s9
	v_mov_b32_e32 v5, v4
	v_mov_b32_e32 v4, v3
	;; [unrolled: 1-line block ×4, first 2 shown]
	s_mov_b32 s12, s8
	s_mov_b32 s13, s9
	s_mov_b32 s14, s8
	s_mov_b32 s15, s9
	s_mov_b32 s16, s8
	s_mov_b32 s17, s9
	s_mov_b32 s26, s25
	s_mov_b32 s27, s25
	s_mov_b32 s28, s25
.LBB62_3:                               ; =>This Inner Loop Header: Depth=1
	v_mad_u64_u32 v[8:9], null, s21, v2, s[6:7]
	v_mad_u64_u32 v[9:10], null, s22, v3, s[12:13]
	v_mad_u64_u32 v[10:11], null, s23, v4, s[14:15]
	v_mad_u64_u32 v[11:12], null, s24, v5, s[16:17]
	v_ashrrev_i32_e32 v13, 31, v2
	v_add_nc_u32_e32 v7, -4, v7
	v_lshlrev_b16 v9, 8, v9
	v_ashrrev_i32_e32 v15, 31, v3
	v_add_co_u32 v12, vcc_lo, s4, v2
	v_lshlrev_b16 v11, 8, v11
	v_or_b32_sdwa v8, v8, v9 dst_sel:DWORD dst_unused:UNUSED_PAD src0_sel:BYTE_0 src1_sel:DWORD
	v_ashrrev_i32_e32 v17, 31, v4
	v_ashrrev_i32_e32 v19, 31, v5
	v_add_co_ci_u32_e64 v13, null, s5, v13, vcc_lo
	v_and_b32_e32 v8, 0xffff, v8
	v_or_b32_sdwa v9, v10, v11 dst_sel:DWORD dst_unused:UNUSED_PAD src0_sel:BYTE_0 src1_sel:DWORD
	v_cmp_eq_u32_e32 vcc_lo, 0, v7
	v_add_co_u32 v14, s0, s4, v3
	v_add_co_u32 v16, s1, s4, v4
	;; [unrolled: 1-line block ×3, first 2 shown]
	v_add_nc_u32_e32 v5, s28, v5
	v_add_nc_u32_e32 v4, s27, v4
	;; [unrolled: 1-line block ×4, first 2 shown]
	v_add_co_ci_u32_e64 v15, null, s5, v15, s0
	v_lshrrev_b32_e32 v11, 8, v8
	v_add_co_ci_u32_e64 v17, null, s5, v17, s1
	v_add_co_ci_u32_e64 v19, null, s5, v19, s2
	v_lshrrev_b32_e32 v10, 8, v9
	s_or_b32 s20, vcc_lo, s20
	global_store_byte v[12:13], v8, off
	global_store_byte v[14:15], v11, off
	;; [unrolled: 1-line block ×4, first 2 shown]
	s_andn2_b32 exec_lo, exec_lo, s20
	s_cbranch_execnz .LBB62_3
; %bb.4:
	s_or_b32 exec_lo, exec_lo, s20
	v_mad_u64_u32 v[1:2], null, v6, s18, v[1:2]
	v_cmp_ne_u32_e32 vcc_lo, v0, v6
	s_orn2_b32 s0, vcc_lo, exec_lo
.LBB62_5:
	s_or_b32 exec_lo, exec_lo, s19
	s_and_b32 exec_lo, exec_lo, s0
	s_cbranch_execz .LBB62_8
; %bb.6:
	v_ashrrev_i32_e32 v0, 31, v1
	v_mad_u64_u32 v[2:3], null, s10, v1, s[8:9]
	v_mul_lo_u32 v4, s11, v1
	s_ashr_i32 s1, s18, 31
	v_mul_lo_u32 v5, s10, v0
	s_mul_hi_u32 s0, s10, s18
	s_mul_i32 s2, s10, s1
	s_mul_i32 s6, s10, s18
	s_add_i32 s0, s0, s2
	s_mul_i32 s2, s11, s18
	s_mov_b32 s7, 0
	s_add_i32 s2, s0, s2
	v_add3_u32 v3, v4, v3, v5
	.p2align	6
.LBB62_7:                               ; =>This Inner Loop Header: Depth=1
	v_add_co_u32 v4, vcc_lo, s4, v1
	v_add_co_ci_u32_e64 v5, null, s5, v0, vcc_lo
	v_add_co_u32 v1, vcc_lo, v1, s18
	v_add_co_ci_u32_e64 v0, null, s1, v0, vcc_lo
	global_store_byte v[4:5], v2, off
	v_cmp_le_i32_e32 vcc_lo, s3, v1
	v_add_co_u32 v2, s0, v2, s6
	v_add_co_ci_u32_e64 v3, null, s2, v3, s0
	s_or_b32 s7, vcc_lo, s7
	s_andn2_b32 exec_lo, exec_lo, s7
	s_cbranch_execnz .LBB62_7
.LBB62_8:
	s_endpgm
	.section	.rodata,"a",@progbits
	.p2align	6, 0x0
	.amdhsa_kernel _ZN12_GLOBAL__N_141elementwise_kernel_with_index_grid_strideIiZZZN2at6native15arange_cuda_outERKN3c106ScalarES6_S6_RNS1_6TensorEENKUlvE_clEvENKUlvE_clEvEUllE_EEvT_T0_PN15function_traitsISD_E11result_typeE
		.amdhsa_group_segment_fixed_size 0
		.amdhsa_private_segment_fixed_size 0
		.amdhsa_kernarg_size 288
		.amdhsa_user_sgpr_count 6
		.amdhsa_user_sgpr_private_segment_buffer 1
		.amdhsa_user_sgpr_dispatch_ptr 0
		.amdhsa_user_sgpr_queue_ptr 0
		.amdhsa_user_sgpr_kernarg_segment_ptr 1
		.amdhsa_user_sgpr_dispatch_id 0
		.amdhsa_user_sgpr_flat_scratch_init 0
		.amdhsa_user_sgpr_private_segment_size 0
		.amdhsa_wavefront_size32 1
		.amdhsa_uses_dynamic_stack 0
		.amdhsa_system_sgpr_private_segment_wavefront_offset 0
		.amdhsa_system_sgpr_workgroup_id_x 1
		.amdhsa_system_sgpr_workgroup_id_y 0
		.amdhsa_system_sgpr_workgroup_id_z 0
		.amdhsa_system_sgpr_workgroup_info 0
		.amdhsa_system_vgpr_workitem_id 0
		.amdhsa_next_free_vgpr 20
		.amdhsa_next_free_sgpr 29
		.amdhsa_reserve_vcc 1
		.amdhsa_reserve_flat_scratch 0
		.amdhsa_float_round_mode_32 0
		.amdhsa_float_round_mode_16_64 0
		.amdhsa_float_denorm_mode_32 3
		.amdhsa_float_denorm_mode_16_64 3
		.amdhsa_dx10_clamp 1
		.amdhsa_ieee_mode 1
		.amdhsa_fp16_overflow 0
		.amdhsa_workgroup_processor_mode 1
		.amdhsa_memory_ordered 1
		.amdhsa_forward_progress 1
		.amdhsa_shared_vgpr_count 0
		.amdhsa_exception_fp_ieee_invalid_op 0
		.amdhsa_exception_fp_denorm_src 0
		.amdhsa_exception_fp_ieee_div_zero 0
		.amdhsa_exception_fp_ieee_overflow 0
		.amdhsa_exception_fp_ieee_underflow 0
		.amdhsa_exception_fp_ieee_inexact 0
		.amdhsa_exception_int_div_zero 0
	.end_amdhsa_kernel
	.section	.text._ZN12_GLOBAL__N_141elementwise_kernel_with_index_grid_strideIiZZZN2at6native15arange_cuda_outERKN3c106ScalarES6_S6_RNS1_6TensorEENKUlvE_clEvENKUlvE_clEvEUllE_EEvT_T0_PN15function_traitsISD_E11result_typeE,"axG",@progbits,_ZN12_GLOBAL__N_141elementwise_kernel_with_index_grid_strideIiZZZN2at6native15arange_cuda_outERKN3c106ScalarES6_S6_RNS1_6TensorEENKUlvE_clEvENKUlvE_clEvEUllE_EEvT_T0_PN15function_traitsISD_E11result_typeE,comdat
.Lfunc_end62:
	.size	_ZN12_GLOBAL__N_141elementwise_kernel_with_index_grid_strideIiZZZN2at6native15arange_cuda_outERKN3c106ScalarES6_S6_RNS1_6TensorEENKUlvE_clEvENKUlvE_clEvEUllE_EEvT_T0_PN15function_traitsISD_E11result_typeE, .Lfunc_end62-_ZN12_GLOBAL__N_141elementwise_kernel_with_index_grid_strideIiZZZN2at6native15arange_cuda_outERKN3c106ScalarES6_S6_RNS1_6TensorEENKUlvE_clEvENKUlvE_clEvEUllE_EEvT_T0_PN15function_traitsISD_E11result_typeE
                                        ; -- End function
	.set _ZN12_GLOBAL__N_141elementwise_kernel_with_index_grid_strideIiZZZN2at6native15arange_cuda_outERKN3c106ScalarES6_S6_RNS1_6TensorEENKUlvE_clEvENKUlvE_clEvEUllE_EEvT_T0_PN15function_traitsISD_E11result_typeE.num_vgpr, 20
	.set _ZN12_GLOBAL__N_141elementwise_kernel_with_index_grid_strideIiZZZN2at6native15arange_cuda_outERKN3c106ScalarES6_S6_RNS1_6TensorEENKUlvE_clEvENKUlvE_clEvEUllE_EEvT_T0_PN15function_traitsISD_E11result_typeE.num_agpr, 0
	.set _ZN12_GLOBAL__N_141elementwise_kernel_with_index_grid_strideIiZZZN2at6native15arange_cuda_outERKN3c106ScalarES6_S6_RNS1_6TensorEENKUlvE_clEvENKUlvE_clEvEUllE_EEvT_T0_PN15function_traitsISD_E11result_typeE.numbered_sgpr, 29
	.set _ZN12_GLOBAL__N_141elementwise_kernel_with_index_grid_strideIiZZZN2at6native15arange_cuda_outERKN3c106ScalarES6_S6_RNS1_6TensorEENKUlvE_clEvENKUlvE_clEvEUllE_EEvT_T0_PN15function_traitsISD_E11result_typeE.num_named_barrier, 0
	.set _ZN12_GLOBAL__N_141elementwise_kernel_with_index_grid_strideIiZZZN2at6native15arange_cuda_outERKN3c106ScalarES6_S6_RNS1_6TensorEENKUlvE_clEvENKUlvE_clEvEUllE_EEvT_T0_PN15function_traitsISD_E11result_typeE.private_seg_size, 0
	.set _ZN12_GLOBAL__N_141elementwise_kernel_with_index_grid_strideIiZZZN2at6native15arange_cuda_outERKN3c106ScalarES6_S6_RNS1_6TensorEENKUlvE_clEvENKUlvE_clEvEUllE_EEvT_T0_PN15function_traitsISD_E11result_typeE.uses_vcc, 1
	.set _ZN12_GLOBAL__N_141elementwise_kernel_with_index_grid_strideIiZZZN2at6native15arange_cuda_outERKN3c106ScalarES6_S6_RNS1_6TensorEENKUlvE_clEvENKUlvE_clEvEUllE_EEvT_T0_PN15function_traitsISD_E11result_typeE.uses_flat_scratch, 0
	.set _ZN12_GLOBAL__N_141elementwise_kernel_with_index_grid_strideIiZZZN2at6native15arange_cuda_outERKN3c106ScalarES6_S6_RNS1_6TensorEENKUlvE_clEvENKUlvE_clEvEUllE_EEvT_T0_PN15function_traitsISD_E11result_typeE.has_dyn_sized_stack, 0
	.set _ZN12_GLOBAL__N_141elementwise_kernel_with_index_grid_strideIiZZZN2at6native15arange_cuda_outERKN3c106ScalarES6_S6_RNS1_6TensorEENKUlvE_clEvENKUlvE_clEvEUllE_EEvT_T0_PN15function_traitsISD_E11result_typeE.has_recursion, 0
	.set _ZN12_GLOBAL__N_141elementwise_kernel_with_index_grid_strideIiZZZN2at6native15arange_cuda_outERKN3c106ScalarES6_S6_RNS1_6TensorEENKUlvE_clEvENKUlvE_clEvEUllE_EEvT_T0_PN15function_traitsISD_E11result_typeE.has_indirect_call, 0
	.section	.AMDGPU.csdata,"",@progbits
; Kernel info:
; codeLenInByte = 844
; TotalNumSgprs: 31
; NumVgprs: 20
; ScratchSize: 0
; MemoryBound: 0
; FloatMode: 240
; IeeeMode: 1
; LDSByteSize: 0 bytes/workgroup (compile time only)
; SGPRBlocks: 0
; VGPRBlocks: 2
; NumSGPRsForWavesPerEU: 31
; NumVGPRsForWavesPerEU: 20
; Occupancy: 16
; WaveLimiterHint : 0
; COMPUTE_PGM_RSRC2:SCRATCH_EN: 0
; COMPUTE_PGM_RSRC2:USER_SGPR: 6
; COMPUTE_PGM_RSRC2:TRAP_HANDLER: 0
; COMPUTE_PGM_RSRC2:TGID_X_EN: 1
; COMPUTE_PGM_RSRC2:TGID_Y_EN: 0
; COMPUTE_PGM_RSRC2:TGID_Z_EN: 0
; COMPUTE_PGM_RSRC2:TIDIG_COMP_CNT: 0
	.section	.text._ZN12_GLOBAL__N_141elementwise_kernel_with_index_grid_strideIlZZZN2at6native15arange_cuda_outERKN3c106ScalarES6_S6_RNS1_6TensorEENKUlvE_clEvENKUlvE_clEvEUllE_EEvT_T0_PN15function_traitsISD_E11result_typeE,"axG",@progbits,_ZN12_GLOBAL__N_141elementwise_kernel_with_index_grid_strideIlZZZN2at6native15arange_cuda_outERKN3c106ScalarES6_S6_RNS1_6TensorEENKUlvE_clEvENKUlvE_clEvEUllE_EEvT_T0_PN15function_traitsISD_E11result_typeE,comdat
	.globl	_ZN12_GLOBAL__N_141elementwise_kernel_with_index_grid_strideIlZZZN2at6native15arange_cuda_outERKN3c106ScalarES6_S6_RNS1_6TensorEENKUlvE_clEvENKUlvE_clEvEUllE_EEvT_T0_PN15function_traitsISD_E11result_typeE ; -- Begin function _ZN12_GLOBAL__N_141elementwise_kernel_with_index_grid_strideIlZZZN2at6native15arange_cuda_outERKN3c106ScalarES6_S6_RNS1_6TensorEENKUlvE_clEvENKUlvE_clEvEUllE_EEvT_T0_PN15function_traitsISD_E11result_typeE
	.p2align	8
	.type	_ZN12_GLOBAL__N_141elementwise_kernel_with_index_grid_strideIlZZZN2at6native15arange_cuda_outERKN3c106ScalarES6_S6_RNS1_6TensorEENKUlvE_clEvENKUlvE_clEvEUllE_EEvT_T0_PN15function_traitsISD_E11result_typeE,@function
_ZN12_GLOBAL__N_141elementwise_kernel_with_index_grid_strideIlZZZN2at6native15arange_cuda_outERKN3c106ScalarES6_S6_RNS1_6TensorEENKUlvE_clEvENKUlvE_clEvEUllE_EEvT_T0_PN15function_traitsISD_E11result_typeE: ; @_ZN12_GLOBAL__N_141elementwise_kernel_with_index_grid_strideIlZZZN2at6native15arange_cuda_outERKN3c106ScalarES6_S6_RNS1_6TensorEENKUlvE_clEvENKUlvE_clEvEUllE_EEvT_T0_PN15function_traitsISD_E11result_typeE
; %bb.0:
	s_clause 0x1
	s_load_dword s2, s[4:5], 0x2c
	s_load_dwordx8 s[8:15], s[4:5], 0x0
	s_add_u32 s0, s4, 32
	s_addc_u32 s1, s5, 0
	v_mov_b32_e32 v3, 0
	s_waitcnt lgkmcnt(0)
	s_and_b32 s7, s2, 0xffff
	s_mul_i32 s25, s7, s6
	s_mul_hi_u32 s24, s7, s6
	v_add_co_u32 v1, s2, s25, v0
	v_add_co_ci_u32_e64 v2, null, s24, 0, s2
	s_mov_b32 s2, exec_lo
	v_cmpx_gt_i64_e64 s[8:9], v[1:2]
	s_cbranch_execz .LBB63_12
; %bb.1:
	s_load_dword s4, s[0:1], 0x0
	s_mov_b32 s5, 0
	s_waitcnt lgkmcnt(0)
	s_add_u32 s0, s6, s4
	s_addc_u32 s1, 0, 0
	s_mul_hi_u32 s2, s0, s7
	s_mul_i32 s1, s1, s7
	s_mul_i32 s26, s0, s7
	s_add_i32 s27, s2, s1
	v_add_co_u32 v6, s0, s26, v0
	v_add_co_ci_u32_e64 v7, null, s27, 0, s0
	s_mul_hi_u32 s3, s7, s4
	s_mul_i32 s2, s7, s4
	v_cmp_gt_i64_e32 vcc_lo, s[8:9], v[6:7]
	v_cndmask_b32_e64 v5, 0, 1, vcc_lo
	v_cndmask_b32_e64 v4, v7, s9, vcc_lo
	;; [unrolled: 1-line block ×3, first 2 shown]
	v_add_co_u32 v6, vcc_lo, v6, v5
	v_add_co_ci_u32_e64 v7, null, 0, v7, vcc_lo
	v_sub_co_u32 v6, vcc_lo, v8, v6
	v_sub_co_ci_u32_e64 v7, null, v4, v7, vcc_lo
	v_or_b32_e32 v4, s3, v7
	v_cmp_ne_u64_e32 vcc_lo, 0, v[3:4]
                                        ; implicit-def: $vgpr3_vgpr4
	s_and_saveexec_b32 s0, vcc_lo
	s_xor_b32 s1, exec_lo, s0
	s_cbranch_execz .LBB63_3
; %bb.2:
	v_cvt_f32_u32_e32 v3, s2
	v_cvt_f32_u32_e32 v4, s3
	s_sub_u32 s17, 0, s2
	s_subb_u32 s18, 0, s3
	v_fmamk_f32 v3, v4, 0x4f800000, v3
	v_rcp_f32_e32 v3, v3
	v_mul_f32_e32 v3, 0x5f7ffffc, v3
	v_mul_f32_e32 v4, 0x2f800000, v3
	v_trunc_f32_e32 v4, v4
	v_fmamk_f32 v3, v4, 0xcf800000, v3
	v_cvt_u32_f32_e32 v4, v4
	v_cvt_u32_f32_e32 v3, v3
	v_readfirstlane_b32 s0, v4
	v_readfirstlane_b32 s16, v3
	s_mul_i32 s19, s17, s0
	s_mul_hi_u32 s21, s17, s16
	s_mul_i32 s20, s18, s16
	s_add_i32 s19, s21, s19
	s_mul_i32 s22, s17, s16
	s_add_i32 s19, s19, s20
	s_mul_hi_u32 s21, s16, s22
	s_mul_i32 s28, s16, s19
	s_mul_hi_u32 s23, s0, s22
	s_mul_i32 s20, s0, s22
	s_mul_hi_u32 s22, s16, s19
	s_add_u32 s21, s21, s28
	s_addc_u32 s22, 0, s22
	s_mul_hi_u32 s29, s0, s19
	s_add_u32 s20, s21, s20
	s_mul_i32 s19, s0, s19
	s_addc_u32 s20, s22, s23
	s_addc_u32 s21, s29, 0
	s_add_u32 s19, s20, s19
	s_addc_u32 s20, 0, s21
	s_add_u32 s16, s16, s19
	s_cselect_b32 s19, -1, 0
	s_mul_hi_u32 s21, s17, s16
	s_cmp_lg_u32 s19, 0
	s_mul_i32 s19, s17, s16
	s_addc_u32 s0, s0, s20
	s_mul_i32 s18, s18, s16
	s_mul_i32 s17, s17, s0
	s_mul_hi_u32 s20, s16, s19
	s_add_i32 s17, s21, s17
	s_mul_hi_u32 s21, s0, s19
	s_add_i32 s17, s17, s18
	s_mul_i32 s18, s0, s19
	s_mul_i32 s23, s16, s17
	s_mul_hi_u32 s22, s16, s17
	s_add_u32 s20, s20, s23
	s_addc_u32 s22, 0, s22
	s_mul_hi_u32 s19, s0, s17
	s_add_u32 s18, s20, s18
	s_mul_i32 s17, s0, s17
	s_addc_u32 s18, s22, s21
	s_addc_u32 s19, s19, 0
	s_add_u32 s17, s18, s17
	s_addc_u32 s18, 0, s19
	s_add_u32 s16, s16, s17
	s_cselect_b32 s17, -1, 0
	v_mul_hi_u32 v12, v6, s16
	s_cmp_lg_u32 s17, 0
	v_mad_u64_u32 v[8:9], null, v7, s16, 0
	s_addc_u32 s0, s0, s18
	v_mad_u64_u32 v[3:4], null, v6, s0, 0
	v_mad_u64_u32 v[10:11], null, v7, s0, 0
	v_add_co_u32 v3, vcc_lo, v12, v3
	v_add_co_ci_u32_e64 v4, null, 0, v4, vcc_lo
	v_add_co_u32 v3, vcc_lo, v3, v8
	v_add_co_ci_u32_e32 v3, vcc_lo, v4, v9, vcc_lo
	v_add_co_ci_u32_e32 v4, vcc_lo, 0, v11, vcc_lo
	v_add_co_u32 v8, vcc_lo, v3, v10
	v_add_co_ci_u32_e64 v9, null, 0, v4, vcc_lo
	v_mul_lo_u32 v10, s3, v8
	v_mad_u64_u32 v[3:4], null, s2, v8, 0
	v_mul_lo_u32 v11, s2, v9
	v_sub_co_u32 v3, vcc_lo, v6, v3
	v_add3_u32 v4, v4, v11, v10
	v_sub_nc_u32_e32 v10, v7, v4
	v_sub_co_ci_u32_e64 v4, null, v7, v4, vcc_lo
	v_subrev_co_ci_u32_e64 v6, null, s3, v10, vcc_lo
	v_add_co_u32 v10, s0, v8, 2
	v_add_co_ci_u32_e64 v11, null, 0, v9, s0
	v_sub_co_u32 v12, s0, v3, s2
	v_subrev_co_ci_u32_e64 v6, null, 0, v6, s0
	v_cmp_eq_u32_e64 s0, s3, v4
	v_cmp_le_u32_e32 vcc_lo, s2, v12
	v_cndmask_b32_e64 v7, 0, -1, vcc_lo
	v_cmp_le_u32_e32 vcc_lo, s3, v6
	v_cndmask_b32_e64 v12, 0, -1, vcc_lo
	;; [unrolled: 2-line block ×4, first 2 shown]
	v_cmp_eq_u32_e32 vcc_lo, s3, v6
	v_cndmask_b32_e64 v3, v13, v3, s0
	v_cndmask_b32_e32 v6, v12, v7, vcc_lo
	v_add_co_u32 v7, vcc_lo, v8, 1
	v_add_co_ci_u32_e64 v12, null, 0, v9, vcc_lo
	v_cmp_ne_u32_e32 vcc_lo, 0, v6
	v_cndmask_b32_e32 v4, v12, v11, vcc_lo
	v_cndmask_b32_e32 v6, v7, v10, vcc_lo
	v_cmp_ne_u32_e32 vcc_lo, 0, v3
	v_cndmask_b32_e32 v4, v9, v4, vcc_lo
	v_cndmask_b32_e32 v3, v8, v6, vcc_lo
                                        ; implicit-def: $vgpr6
.LBB63_3:
	s_andn2_saveexec_b32 s0, s1
	s_cbranch_execz .LBB63_5
; %bb.4:
	v_cvt_f32_u32_e32 v3, s2
	s_sub_i32 s1, 0, s2
	v_rcp_iflag_f32_e32 v3, v3
	v_mul_f32_e32 v3, 0x4f7ffffe, v3
	v_cvt_u32_f32_e32 v3, v3
	v_mul_lo_u32 v4, s1, v3
	v_mul_hi_u32 v4, v3, v4
	v_add_nc_u32_e32 v3, v3, v4
	v_mul_hi_u32 v3, v6, v3
	v_mul_lo_u32 v4, v3, s2
	v_sub_nc_u32_e32 v4, v6, v4
	v_add_nc_u32_e32 v6, 1, v3
	v_subrev_nc_u32_e32 v7, s2, v4
	v_cmp_le_u32_e32 vcc_lo, s2, v4
	v_cndmask_b32_e32 v4, v4, v7, vcc_lo
	v_cndmask_b32_e32 v3, v3, v6, vcc_lo
	v_cmp_le_u32_e32 vcc_lo, s2, v4
	v_add_nc_u32_e32 v6, 1, v3
	v_mov_b32_e32 v4, 0
	v_cndmask_b32_e32 v3, v3, v6, vcc_lo
.LBB63_5:
	s_or_b32 exec_lo, exec_lo, s0
	v_add_co_u32 v3, vcc_lo, v3, v5
	v_add_co_ci_u32_e64 v4, null, 0, v4, vcc_lo
	s_mov_b32 s0, -1
	v_add_co_u32 v11, vcc_lo, v3, 1
	v_add_co_ci_u32_e64 v12, null, 0, v4, vcc_lo
	s_mov_b32 s28, exec_lo
	v_cmpx_lt_u64_e32 3, v[11:12]
	s_cbranch_execz .LBB63_9
; %bb.6:
	v_mad_u64_u32 v[7:8], null, s2, 3, v[1:2]
	s_mul_i32 s38, s4, 3
	v_mad_u64_u32 v[5:6], null, s2, 2, v[1:2]
	v_mad_u64_u32 v[3:4], null, s2, 1, v[1:2]
	s_lshl_b64 s[22:23], s[2:3], 2
	s_mul_hi_u32 s39, s4, 3
	v_mad_u64_u32 v[8:9], null, s3, 3, v[8:9]
	s_add_u32 s41, s38, s6
	s_addc_u32 s39, s39, 0
	v_mov_b32_e32 v14, v12
	s_mul_i32 s40, s39, s7
	s_mul_hi_u32 s42, s41, s7
	v_and_b32_e32 v13, -4, v11
	s_add_i32 s40, s42, s40
	s_lshl_b64 s[42:43], s[4:5], 1
	v_lshl_add_u32 v6, s3, 1, v6
	v_add_nc_u32_e32 v4, s3, v4
	s_mul_i32 s5, s41, s7
	s_add_u32 s41, s42, s6
	v_add_co_u32 v0, s42, s14, v0
	s_addc_u32 s6, s43, 0
	v_mov_b32_e32 v16, v14
	v_mov_b32_e32 v10, v8
	v_add_co_ci_u32_e64 v17, null, s15, 0, s42
	v_mov_b32_e32 v15, v13
	v_mov_b32_e32 v9, v7
	;; [unrolled: 1-line block ×8, first 2 shown]
	s_mul_i32 s6, s6, s7
	s_mul_hi_u32 s42, s41, s7
	s_mov_b32 s29, s12
	s_mov_b32 s30, s12
	;; [unrolled: 1-line block ×18, first 2 shown]
	s_add_i32 s6, s42, s6
	s_mul_i32 s42, s41, s7
	s_mov_b32 s41, 0
.LBB63_7:                               ; =>This Inner Loop Header: Depth=1
	v_mad_u64_u32 v[18:19], null, v3, s29, s[0:1]
	v_mad_u64_u32 v[19:20], null, v5, s30, s[16:17]
	;; [unrolled: 1-line block ×4, first 2 shown]
	v_add_co_u32 v22, vcc_lo, v0, s25
	v_add_co_ci_u32_e64 v23, null, s24, v17, vcc_lo
	v_add_co_u32 v24, vcc_lo, v0, s26
	v_add_co_ci_u32_e64 v25, null, s27, v17, vcc_lo
	;; [unrolled: 2-line block ×6, first 2 shown]
	v_add_co_u32 v5, vcc_lo, v5, s34
	v_lshlrev_b16 v19, 8, v19
	v_add_co_ci_u32_e64 v6, null, s35, v6, vcc_lo
	v_add_co_u32 v3, vcc_lo, v3, s22
	v_add_co_ci_u32_e64 v4, null, s23, v4, vcc_lo
	v_add_co_u32 v15, vcc_lo, v15, -4
	v_or_b32_sdwa v18, v18, v19 dst_sel:DWORD dst_unused:UNUSED_PAD src0_sel:BYTE_0 src1_sel:DWORD
	v_add_co_ci_u32_e64 v16, null, -1, v16, vcc_lo
	v_lshlrev_b16 v21, 8, v21
	v_add_co_u32 v0, vcc_lo, v0, s22
	v_and_b32_e32 v18, 0xffff, v18
	v_add_co_ci_u32_e64 v17, null, s23, v17, vcc_lo
	v_cmp_eq_u64_e32 vcc_lo, 0, v[15:16]
	v_or_b32_sdwa v19, v20, v21 dst_sel:DWORD dst_unused:UNUSED_PAD src0_sel:BYTE_0 src1_sel:DWORD
	v_lshrrev_b32_e32 v21, 8, v18
	v_lshrrev_b32_e32 v20, 8, v19
	s_or_b32 s41, vcc_lo, s41
	global_store_byte v[22:23], v18, off
	global_store_byte v[24:25], v21, off
	;; [unrolled: 1-line block ×4, first 2 shown]
	s_andn2_b32 exec_lo, exec_lo, s41
	s_cbranch_execnz .LBB63_7
; %bb.8:
	s_or_b32 exec_lo, exec_lo, s41
	v_mad_u64_u32 v[1:2], null, v13, s2, v[1:2]
	v_mul_lo_u32 v0, v13, s3
	v_mul_lo_u32 v3, v14, s2
	v_cmp_ne_u64_e32 vcc_lo, v[11:12], v[13:14]
	s_orn2_b32 s0, vcc_lo, exec_lo
	v_add3_u32 v2, v3, v2, v0
.LBB63_9:
	s_or_b32 exec_lo, exec_lo, s28
	s_and_b32 exec_lo, exec_lo, s0
	s_cbranch_execz .LBB63_12
; %bb.10:
	v_mad_u64_u32 v[3:4], null, v1, s12, s[10:11]
	v_mul_lo_u32 v0, v1, s13
	v_mul_lo_u32 v5, v2, s12
	s_mul_i32 s0, s13, s7
	s_mul_hi_u32 s1, s12, s7
	s_mul_i32 s5, s12, s7
	s_add_i32 s0, s1, s0
	s_mul_hi_u32 s1, s5, s4
	s_mul_i32 s0, s0, s4
	s_mul_i32 s4, s5, s4
	v_add3_u32 v4, v5, v4, v0
	s_add_i32 s1, s1, s0
	s_mov_b32 s5, 0
	.p2align	6
.LBB63_11:                              ; =>This Inner Loop Header: Depth=1
	v_add_co_u32 v5, vcc_lo, s14, v1
	v_add_co_ci_u32_e64 v6, null, s15, v2, vcc_lo
	v_add_co_u32 v1, vcc_lo, v1, s2
	v_add_co_ci_u32_e64 v2, null, s3, v2, vcc_lo
	global_store_byte v[5:6], v3, off
	v_add_co_u32 v3, s0, v3, s4
	v_cmp_le_i64_e32 vcc_lo, s[8:9], v[1:2]
	v_add_co_ci_u32_e64 v4, null, s1, v4, s0
	s_or_b32 s5, vcc_lo, s5
	s_andn2_b32 exec_lo, exec_lo, s5
	s_cbranch_execnz .LBB63_11
.LBB63_12:
	s_endpgm
	.section	.rodata,"a",@progbits
	.p2align	6, 0x0
	.amdhsa_kernel _ZN12_GLOBAL__N_141elementwise_kernel_with_index_grid_strideIlZZZN2at6native15arange_cuda_outERKN3c106ScalarES6_S6_RNS1_6TensorEENKUlvE_clEvENKUlvE_clEvEUllE_EEvT_T0_PN15function_traitsISD_E11result_typeE
		.amdhsa_group_segment_fixed_size 0
		.amdhsa_private_segment_fixed_size 0
		.amdhsa_kernarg_size 288
		.amdhsa_user_sgpr_count 6
		.amdhsa_user_sgpr_private_segment_buffer 1
		.amdhsa_user_sgpr_dispatch_ptr 0
		.amdhsa_user_sgpr_queue_ptr 0
		.amdhsa_user_sgpr_kernarg_segment_ptr 1
		.amdhsa_user_sgpr_dispatch_id 0
		.amdhsa_user_sgpr_flat_scratch_init 0
		.amdhsa_user_sgpr_private_segment_size 0
		.amdhsa_wavefront_size32 1
		.amdhsa_uses_dynamic_stack 0
		.amdhsa_system_sgpr_private_segment_wavefront_offset 0
		.amdhsa_system_sgpr_workgroup_id_x 1
		.amdhsa_system_sgpr_workgroup_id_y 0
		.amdhsa_system_sgpr_workgroup_id_z 0
		.amdhsa_system_sgpr_workgroup_info 0
		.amdhsa_system_vgpr_workitem_id 0
		.amdhsa_next_free_vgpr 30
		.amdhsa_next_free_sgpr 44
		.amdhsa_reserve_vcc 1
		.amdhsa_reserve_flat_scratch 0
		.amdhsa_float_round_mode_32 0
		.amdhsa_float_round_mode_16_64 0
		.amdhsa_float_denorm_mode_32 3
		.amdhsa_float_denorm_mode_16_64 3
		.amdhsa_dx10_clamp 1
		.amdhsa_ieee_mode 1
		.amdhsa_fp16_overflow 0
		.amdhsa_workgroup_processor_mode 1
		.amdhsa_memory_ordered 1
		.amdhsa_forward_progress 1
		.amdhsa_shared_vgpr_count 0
		.amdhsa_exception_fp_ieee_invalid_op 0
		.amdhsa_exception_fp_denorm_src 0
		.amdhsa_exception_fp_ieee_div_zero 0
		.amdhsa_exception_fp_ieee_overflow 0
		.amdhsa_exception_fp_ieee_underflow 0
		.amdhsa_exception_fp_ieee_inexact 0
		.amdhsa_exception_int_div_zero 0
	.end_amdhsa_kernel
	.section	.text._ZN12_GLOBAL__N_141elementwise_kernel_with_index_grid_strideIlZZZN2at6native15arange_cuda_outERKN3c106ScalarES6_S6_RNS1_6TensorEENKUlvE_clEvENKUlvE_clEvEUllE_EEvT_T0_PN15function_traitsISD_E11result_typeE,"axG",@progbits,_ZN12_GLOBAL__N_141elementwise_kernel_with_index_grid_strideIlZZZN2at6native15arange_cuda_outERKN3c106ScalarES6_S6_RNS1_6TensorEENKUlvE_clEvENKUlvE_clEvEUllE_EEvT_T0_PN15function_traitsISD_E11result_typeE,comdat
.Lfunc_end63:
	.size	_ZN12_GLOBAL__N_141elementwise_kernel_with_index_grid_strideIlZZZN2at6native15arange_cuda_outERKN3c106ScalarES6_S6_RNS1_6TensorEENKUlvE_clEvENKUlvE_clEvEUllE_EEvT_T0_PN15function_traitsISD_E11result_typeE, .Lfunc_end63-_ZN12_GLOBAL__N_141elementwise_kernel_with_index_grid_strideIlZZZN2at6native15arange_cuda_outERKN3c106ScalarES6_S6_RNS1_6TensorEENKUlvE_clEvENKUlvE_clEvEUllE_EEvT_T0_PN15function_traitsISD_E11result_typeE
                                        ; -- End function
	.set _ZN12_GLOBAL__N_141elementwise_kernel_with_index_grid_strideIlZZZN2at6native15arange_cuda_outERKN3c106ScalarES6_S6_RNS1_6TensorEENKUlvE_clEvENKUlvE_clEvEUllE_EEvT_T0_PN15function_traitsISD_E11result_typeE.num_vgpr, 30
	.set _ZN12_GLOBAL__N_141elementwise_kernel_with_index_grid_strideIlZZZN2at6native15arange_cuda_outERKN3c106ScalarES6_S6_RNS1_6TensorEENKUlvE_clEvENKUlvE_clEvEUllE_EEvT_T0_PN15function_traitsISD_E11result_typeE.num_agpr, 0
	.set _ZN12_GLOBAL__N_141elementwise_kernel_with_index_grid_strideIlZZZN2at6native15arange_cuda_outERKN3c106ScalarES6_S6_RNS1_6TensorEENKUlvE_clEvENKUlvE_clEvEUllE_EEvT_T0_PN15function_traitsISD_E11result_typeE.numbered_sgpr, 44
	.set _ZN12_GLOBAL__N_141elementwise_kernel_with_index_grid_strideIlZZZN2at6native15arange_cuda_outERKN3c106ScalarES6_S6_RNS1_6TensorEENKUlvE_clEvENKUlvE_clEvEUllE_EEvT_T0_PN15function_traitsISD_E11result_typeE.num_named_barrier, 0
	.set _ZN12_GLOBAL__N_141elementwise_kernel_with_index_grid_strideIlZZZN2at6native15arange_cuda_outERKN3c106ScalarES6_S6_RNS1_6TensorEENKUlvE_clEvENKUlvE_clEvEUllE_EEvT_T0_PN15function_traitsISD_E11result_typeE.private_seg_size, 0
	.set _ZN12_GLOBAL__N_141elementwise_kernel_with_index_grid_strideIlZZZN2at6native15arange_cuda_outERKN3c106ScalarES6_S6_RNS1_6TensorEENKUlvE_clEvENKUlvE_clEvEUllE_EEvT_T0_PN15function_traitsISD_E11result_typeE.uses_vcc, 1
	.set _ZN12_GLOBAL__N_141elementwise_kernel_with_index_grid_strideIlZZZN2at6native15arange_cuda_outERKN3c106ScalarES6_S6_RNS1_6TensorEENKUlvE_clEvENKUlvE_clEvEUllE_EEvT_T0_PN15function_traitsISD_E11result_typeE.uses_flat_scratch, 0
	.set _ZN12_GLOBAL__N_141elementwise_kernel_with_index_grid_strideIlZZZN2at6native15arange_cuda_outERKN3c106ScalarES6_S6_RNS1_6TensorEENKUlvE_clEvENKUlvE_clEvEUllE_EEvT_T0_PN15function_traitsISD_E11result_typeE.has_dyn_sized_stack, 0
	.set _ZN12_GLOBAL__N_141elementwise_kernel_with_index_grid_strideIlZZZN2at6native15arange_cuda_outERKN3c106ScalarES6_S6_RNS1_6TensorEENKUlvE_clEvENKUlvE_clEvEUllE_EEvT_T0_PN15function_traitsISD_E11result_typeE.has_recursion, 0
	.set _ZN12_GLOBAL__N_141elementwise_kernel_with_index_grid_strideIlZZZN2at6native15arange_cuda_outERKN3c106ScalarES6_S6_RNS1_6TensorEENKUlvE_clEvENKUlvE_clEvEUllE_EEvT_T0_PN15function_traitsISD_E11result_typeE.has_indirect_call, 0
	.section	.AMDGPU.csdata,"",@progbits
; Kernel info:
; codeLenInByte = 1676
; TotalNumSgprs: 46
; NumVgprs: 30
; ScratchSize: 0
; MemoryBound: 0
; FloatMode: 240
; IeeeMode: 1
; LDSByteSize: 0 bytes/workgroup (compile time only)
; SGPRBlocks: 0
; VGPRBlocks: 3
; NumSGPRsForWavesPerEU: 46
; NumVGPRsForWavesPerEU: 30
; Occupancy: 16
; WaveLimiterHint : 0
; COMPUTE_PGM_RSRC2:SCRATCH_EN: 0
; COMPUTE_PGM_RSRC2:USER_SGPR: 6
; COMPUTE_PGM_RSRC2:TRAP_HANDLER: 0
; COMPUTE_PGM_RSRC2:TGID_X_EN: 1
; COMPUTE_PGM_RSRC2:TGID_Y_EN: 0
; COMPUTE_PGM_RSRC2:TGID_Z_EN: 0
; COMPUTE_PGM_RSRC2:TIDIG_COMP_CNT: 0
	.section	.text._ZN12_GLOBAL__N_141elementwise_kernel_with_index_grid_strideIiZZZN2at6native15arange_cuda_outERKN3c106ScalarES6_S6_RNS1_6TensorEENKUlvE_clEvENKUlvE0_clEvEUllE_EEvT_T0_PN15function_traitsISD_E11result_typeE,"axG",@progbits,_ZN12_GLOBAL__N_141elementwise_kernel_with_index_grid_strideIiZZZN2at6native15arange_cuda_outERKN3c106ScalarES6_S6_RNS1_6TensorEENKUlvE_clEvENKUlvE0_clEvEUllE_EEvT_T0_PN15function_traitsISD_E11result_typeE,comdat
	.globl	_ZN12_GLOBAL__N_141elementwise_kernel_with_index_grid_strideIiZZZN2at6native15arange_cuda_outERKN3c106ScalarES6_S6_RNS1_6TensorEENKUlvE_clEvENKUlvE0_clEvEUllE_EEvT_T0_PN15function_traitsISD_E11result_typeE ; -- Begin function _ZN12_GLOBAL__N_141elementwise_kernel_with_index_grid_strideIiZZZN2at6native15arange_cuda_outERKN3c106ScalarES6_S6_RNS1_6TensorEENKUlvE_clEvENKUlvE0_clEvEUllE_EEvT_T0_PN15function_traitsISD_E11result_typeE
	.p2align	8
	.type	_ZN12_GLOBAL__N_141elementwise_kernel_with_index_grid_strideIiZZZN2at6native15arange_cuda_outERKN3c106ScalarES6_S6_RNS1_6TensorEENKUlvE_clEvENKUlvE0_clEvEUllE_EEvT_T0_PN15function_traitsISD_E11result_typeE,@function
_ZN12_GLOBAL__N_141elementwise_kernel_with_index_grid_strideIiZZZN2at6native15arange_cuda_outERKN3c106ScalarES6_S6_RNS1_6TensorEENKUlvE_clEvENKUlvE0_clEvEUllE_EEvT_T0_PN15function_traitsISD_E11result_typeE: ; @_ZN12_GLOBAL__N_141elementwise_kernel_with_index_grid_strideIiZZZN2at6native15arange_cuda_outERKN3c106ScalarES6_S6_RNS1_6TensorEENKUlvE_clEvENKUlvE0_clEvEUllE_EEvT_T0_PN15function_traitsISD_E11result_typeE
; %bb.0:
	s_clause 0x1
	s_load_dword s2, s[4:5], 0x2c
	s_load_dword s3, s[4:5], 0x0
	s_add_u32 s0, s4, 32
	s_addc_u32 s1, s5, 0
	s_mov_b32 s7, exec_lo
	s_waitcnt lgkmcnt(0)
	s_and_b32 s2, s2, 0xffff
	v_mad_u64_u32 v[1:2], null, s6, s2, v[0:1]
	v_cmpx_gt_i32_e64 s3, v1
	s_cbranch_execz .LBB64_8
; %bb.1:
	s_load_dword s0, s[0:1], 0x0
	s_clause 0x1
	s_load_dwordx4 s[8:11], s[4:5], 0x8
	s_load_dwordx2 s[4:5], s[4:5], 0x18
	s_mov_b32 s20, 0
	s_mov_b32 s19, exec_lo
	s_waitcnt lgkmcnt(0)
	s_mul_i32 s18, s0, s2
	s_add_i32 s0, s6, s0
	v_cvt_f32_u32_e32 v2, s18
	s_sub_i32 s1, 0, s18
	s_mul_i32 s0, s0, s2
	v_add_nc_u32_e32 v4, s0, v0
	v_rcp_iflag_f32_e32 v2, v2
	v_cmp_gt_i32_e32 vcc_lo, s3, v4
	v_max_i32_e32 v5, s3, v4
	v_add_co_ci_u32_e64 v0, null, s0, v0, vcc_lo
	v_mul_f32_e32 v2, 0x4f7ffffe, v2
	v_sub_nc_u32_e32 v0, v5, v0
	v_cvt_u32_f32_e32 v2, v2
	v_mul_lo_u32 v3, s1, v2
	v_mul_hi_u32 v3, v2, v3
	v_add_nc_u32_e32 v2, v2, v3
	v_mul_hi_u32 v2, v0, v2
	v_mul_lo_u32 v3, v2, s18
	v_sub_nc_u32_e32 v0, v0, v3
	v_add_nc_u32_e32 v3, 1, v2
	v_subrev_nc_u32_e32 v4, s18, v0
	v_cmp_le_u32_e64 s0, s18, v0
	v_cndmask_b32_e64 v2, v2, v3, s0
	v_cndmask_b32_e64 v0, v0, v4, s0
	v_add_nc_u32_e32 v3, 1, v2
	v_cmp_le_u32_e64 s0, s18, v0
	v_cndmask_b32_e64 v0, v2, v3, s0
	s_mov_b32 s0, -1
	v_add_co_ci_u32_e64 v0, null, 1, v0, vcc_lo
	v_cmpx_lt_u32_e32 3, v0
	s_cbranch_execz .LBB64_5
; %bb.2:
	v_add_nc_u32_e32 v2, s18, v1
	v_and_b32_e32 v6, -4, v0
	v_lshl_add_u32 v3, s18, 1, v1
	s_lshl_b32 s25, s18, 2
	s_mov_b32 s21, s10
	v_mad_u64_u32 v[4:5], null, s18, 3, v[1:2]
	v_mov_b32_e32 v7, v6
	s_mov_b32 s22, s10
	s_mov_b32 s23, s10
	;; [unrolled: 1-line block ×5, first 2 shown]
	v_mov_b32_e32 v5, v4
	v_mov_b32_e32 v4, v3
	;; [unrolled: 1-line block ×4, first 2 shown]
	s_mov_b32 s12, s8
	s_mov_b32 s13, s9
	;; [unrolled: 1-line block ×9, first 2 shown]
.LBB64_3:                               ; =>This Inner Loop Header: Depth=1
	v_mad_u64_u32 v[8:9], null, s21, v2, s[6:7]
	v_mad_u64_u32 v[9:10], null, s22, v3, s[12:13]
	;; [unrolled: 1-line block ×4, first 2 shown]
	v_ashrrev_i32_e32 v13, 31, v2
	v_add_nc_u32_e32 v7, -4, v7
	v_lshlrev_b16 v9, 8, v9
	v_ashrrev_i32_e32 v15, 31, v3
	v_add_co_u32 v12, vcc_lo, s4, v2
	v_lshlrev_b16 v11, 8, v11
	v_or_b32_sdwa v8, v8, v9 dst_sel:DWORD dst_unused:UNUSED_PAD src0_sel:BYTE_0 src1_sel:DWORD
	v_ashrrev_i32_e32 v17, 31, v4
	v_ashrrev_i32_e32 v19, 31, v5
	v_add_co_ci_u32_e64 v13, null, s5, v13, vcc_lo
	v_and_b32_e32 v8, 0xffff, v8
	v_or_b32_sdwa v9, v10, v11 dst_sel:DWORD dst_unused:UNUSED_PAD src0_sel:BYTE_0 src1_sel:DWORD
	v_cmp_eq_u32_e32 vcc_lo, 0, v7
	v_add_co_u32 v14, s0, s4, v3
	v_add_co_u32 v16, s1, s4, v4
	;; [unrolled: 1-line block ×3, first 2 shown]
	v_add_nc_u32_e32 v5, s28, v5
	v_add_nc_u32_e32 v4, s27, v4
	;; [unrolled: 1-line block ×4, first 2 shown]
	v_add_co_ci_u32_e64 v15, null, s5, v15, s0
	v_lshrrev_b32_e32 v11, 8, v8
	v_add_co_ci_u32_e64 v17, null, s5, v17, s1
	v_add_co_ci_u32_e64 v19, null, s5, v19, s2
	v_lshrrev_b32_e32 v10, 8, v9
	s_or_b32 s20, vcc_lo, s20
	global_store_byte v[12:13], v8, off
	global_store_byte v[14:15], v11, off
	;; [unrolled: 1-line block ×4, first 2 shown]
	s_andn2_b32 exec_lo, exec_lo, s20
	s_cbranch_execnz .LBB64_3
; %bb.4:
	s_or_b32 exec_lo, exec_lo, s20
	v_mad_u64_u32 v[1:2], null, v6, s18, v[1:2]
	v_cmp_ne_u32_e32 vcc_lo, v0, v6
	s_orn2_b32 s0, vcc_lo, exec_lo
.LBB64_5:
	s_or_b32 exec_lo, exec_lo, s19
	s_and_b32 exec_lo, exec_lo, s0
	s_cbranch_execz .LBB64_8
; %bb.6:
	v_ashrrev_i32_e32 v0, 31, v1
	v_mad_u64_u32 v[2:3], null, s10, v1, s[8:9]
	v_mul_lo_u32 v4, s11, v1
	s_ashr_i32 s1, s18, 31
	v_mul_lo_u32 v5, s10, v0
	s_mul_hi_u32 s0, s10, s18
	s_mul_i32 s2, s10, s1
	s_mul_i32 s6, s10, s18
	s_add_i32 s0, s0, s2
	s_mul_i32 s2, s11, s18
	s_mov_b32 s7, 0
	s_add_i32 s2, s0, s2
	v_add3_u32 v3, v4, v3, v5
	.p2align	6
.LBB64_7:                               ; =>This Inner Loop Header: Depth=1
	v_add_co_u32 v4, vcc_lo, s4, v1
	v_add_co_ci_u32_e64 v5, null, s5, v0, vcc_lo
	v_add_co_u32 v1, vcc_lo, v1, s18
	v_add_co_ci_u32_e64 v0, null, s1, v0, vcc_lo
	global_store_byte v[4:5], v2, off
	v_cmp_le_i32_e32 vcc_lo, s3, v1
	v_add_co_u32 v2, s0, v2, s6
	v_add_co_ci_u32_e64 v3, null, s2, v3, s0
	s_or_b32 s7, vcc_lo, s7
	s_andn2_b32 exec_lo, exec_lo, s7
	s_cbranch_execnz .LBB64_7
.LBB64_8:
	s_endpgm
	.section	.rodata,"a",@progbits
	.p2align	6, 0x0
	.amdhsa_kernel _ZN12_GLOBAL__N_141elementwise_kernel_with_index_grid_strideIiZZZN2at6native15arange_cuda_outERKN3c106ScalarES6_S6_RNS1_6TensorEENKUlvE_clEvENKUlvE0_clEvEUllE_EEvT_T0_PN15function_traitsISD_E11result_typeE
		.amdhsa_group_segment_fixed_size 0
		.amdhsa_private_segment_fixed_size 0
		.amdhsa_kernarg_size 288
		.amdhsa_user_sgpr_count 6
		.amdhsa_user_sgpr_private_segment_buffer 1
		.amdhsa_user_sgpr_dispatch_ptr 0
		.amdhsa_user_sgpr_queue_ptr 0
		.amdhsa_user_sgpr_kernarg_segment_ptr 1
		.amdhsa_user_sgpr_dispatch_id 0
		.amdhsa_user_sgpr_flat_scratch_init 0
		.amdhsa_user_sgpr_private_segment_size 0
		.amdhsa_wavefront_size32 1
		.amdhsa_uses_dynamic_stack 0
		.amdhsa_system_sgpr_private_segment_wavefront_offset 0
		.amdhsa_system_sgpr_workgroup_id_x 1
		.amdhsa_system_sgpr_workgroup_id_y 0
		.amdhsa_system_sgpr_workgroup_id_z 0
		.amdhsa_system_sgpr_workgroup_info 0
		.amdhsa_system_vgpr_workitem_id 0
		.amdhsa_next_free_vgpr 20
		.amdhsa_next_free_sgpr 29
		.amdhsa_reserve_vcc 1
		.amdhsa_reserve_flat_scratch 0
		.amdhsa_float_round_mode_32 0
		.amdhsa_float_round_mode_16_64 0
		.amdhsa_float_denorm_mode_32 3
		.amdhsa_float_denorm_mode_16_64 3
		.amdhsa_dx10_clamp 1
		.amdhsa_ieee_mode 1
		.amdhsa_fp16_overflow 0
		.amdhsa_workgroup_processor_mode 1
		.amdhsa_memory_ordered 1
		.amdhsa_forward_progress 1
		.amdhsa_shared_vgpr_count 0
		.amdhsa_exception_fp_ieee_invalid_op 0
		.amdhsa_exception_fp_denorm_src 0
		.amdhsa_exception_fp_ieee_div_zero 0
		.amdhsa_exception_fp_ieee_overflow 0
		.amdhsa_exception_fp_ieee_underflow 0
		.amdhsa_exception_fp_ieee_inexact 0
		.amdhsa_exception_int_div_zero 0
	.end_amdhsa_kernel
	.section	.text._ZN12_GLOBAL__N_141elementwise_kernel_with_index_grid_strideIiZZZN2at6native15arange_cuda_outERKN3c106ScalarES6_S6_RNS1_6TensorEENKUlvE_clEvENKUlvE0_clEvEUllE_EEvT_T0_PN15function_traitsISD_E11result_typeE,"axG",@progbits,_ZN12_GLOBAL__N_141elementwise_kernel_with_index_grid_strideIiZZZN2at6native15arange_cuda_outERKN3c106ScalarES6_S6_RNS1_6TensorEENKUlvE_clEvENKUlvE0_clEvEUllE_EEvT_T0_PN15function_traitsISD_E11result_typeE,comdat
.Lfunc_end64:
	.size	_ZN12_GLOBAL__N_141elementwise_kernel_with_index_grid_strideIiZZZN2at6native15arange_cuda_outERKN3c106ScalarES6_S6_RNS1_6TensorEENKUlvE_clEvENKUlvE0_clEvEUllE_EEvT_T0_PN15function_traitsISD_E11result_typeE, .Lfunc_end64-_ZN12_GLOBAL__N_141elementwise_kernel_with_index_grid_strideIiZZZN2at6native15arange_cuda_outERKN3c106ScalarES6_S6_RNS1_6TensorEENKUlvE_clEvENKUlvE0_clEvEUllE_EEvT_T0_PN15function_traitsISD_E11result_typeE
                                        ; -- End function
	.set _ZN12_GLOBAL__N_141elementwise_kernel_with_index_grid_strideIiZZZN2at6native15arange_cuda_outERKN3c106ScalarES6_S6_RNS1_6TensorEENKUlvE_clEvENKUlvE0_clEvEUllE_EEvT_T0_PN15function_traitsISD_E11result_typeE.num_vgpr, 20
	.set _ZN12_GLOBAL__N_141elementwise_kernel_with_index_grid_strideIiZZZN2at6native15arange_cuda_outERKN3c106ScalarES6_S6_RNS1_6TensorEENKUlvE_clEvENKUlvE0_clEvEUllE_EEvT_T0_PN15function_traitsISD_E11result_typeE.num_agpr, 0
	.set _ZN12_GLOBAL__N_141elementwise_kernel_with_index_grid_strideIiZZZN2at6native15arange_cuda_outERKN3c106ScalarES6_S6_RNS1_6TensorEENKUlvE_clEvENKUlvE0_clEvEUllE_EEvT_T0_PN15function_traitsISD_E11result_typeE.numbered_sgpr, 29
	.set _ZN12_GLOBAL__N_141elementwise_kernel_with_index_grid_strideIiZZZN2at6native15arange_cuda_outERKN3c106ScalarES6_S6_RNS1_6TensorEENKUlvE_clEvENKUlvE0_clEvEUllE_EEvT_T0_PN15function_traitsISD_E11result_typeE.num_named_barrier, 0
	.set _ZN12_GLOBAL__N_141elementwise_kernel_with_index_grid_strideIiZZZN2at6native15arange_cuda_outERKN3c106ScalarES6_S6_RNS1_6TensorEENKUlvE_clEvENKUlvE0_clEvEUllE_EEvT_T0_PN15function_traitsISD_E11result_typeE.private_seg_size, 0
	.set _ZN12_GLOBAL__N_141elementwise_kernel_with_index_grid_strideIiZZZN2at6native15arange_cuda_outERKN3c106ScalarES6_S6_RNS1_6TensorEENKUlvE_clEvENKUlvE0_clEvEUllE_EEvT_T0_PN15function_traitsISD_E11result_typeE.uses_vcc, 1
	.set _ZN12_GLOBAL__N_141elementwise_kernel_with_index_grid_strideIiZZZN2at6native15arange_cuda_outERKN3c106ScalarES6_S6_RNS1_6TensorEENKUlvE_clEvENKUlvE0_clEvEUllE_EEvT_T0_PN15function_traitsISD_E11result_typeE.uses_flat_scratch, 0
	.set _ZN12_GLOBAL__N_141elementwise_kernel_with_index_grid_strideIiZZZN2at6native15arange_cuda_outERKN3c106ScalarES6_S6_RNS1_6TensorEENKUlvE_clEvENKUlvE0_clEvEUllE_EEvT_T0_PN15function_traitsISD_E11result_typeE.has_dyn_sized_stack, 0
	.set _ZN12_GLOBAL__N_141elementwise_kernel_with_index_grid_strideIiZZZN2at6native15arange_cuda_outERKN3c106ScalarES6_S6_RNS1_6TensorEENKUlvE_clEvENKUlvE0_clEvEUllE_EEvT_T0_PN15function_traitsISD_E11result_typeE.has_recursion, 0
	.set _ZN12_GLOBAL__N_141elementwise_kernel_with_index_grid_strideIiZZZN2at6native15arange_cuda_outERKN3c106ScalarES6_S6_RNS1_6TensorEENKUlvE_clEvENKUlvE0_clEvEUllE_EEvT_T0_PN15function_traitsISD_E11result_typeE.has_indirect_call, 0
	.section	.AMDGPU.csdata,"",@progbits
; Kernel info:
; codeLenInByte = 844
; TotalNumSgprs: 31
; NumVgprs: 20
; ScratchSize: 0
; MemoryBound: 0
; FloatMode: 240
; IeeeMode: 1
; LDSByteSize: 0 bytes/workgroup (compile time only)
; SGPRBlocks: 0
; VGPRBlocks: 2
; NumSGPRsForWavesPerEU: 31
; NumVGPRsForWavesPerEU: 20
; Occupancy: 16
; WaveLimiterHint : 0
; COMPUTE_PGM_RSRC2:SCRATCH_EN: 0
; COMPUTE_PGM_RSRC2:USER_SGPR: 6
; COMPUTE_PGM_RSRC2:TRAP_HANDLER: 0
; COMPUTE_PGM_RSRC2:TGID_X_EN: 1
; COMPUTE_PGM_RSRC2:TGID_Y_EN: 0
; COMPUTE_PGM_RSRC2:TGID_Z_EN: 0
; COMPUTE_PGM_RSRC2:TIDIG_COMP_CNT: 0
	.section	.text._ZN12_GLOBAL__N_141elementwise_kernel_with_index_grid_strideIlZZZN2at6native15arange_cuda_outERKN3c106ScalarES6_S6_RNS1_6TensorEENKUlvE_clEvENKUlvE0_clEvEUllE_EEvT_T0_PN15function_traitsISD_E11result_typeE,"axG",@progbits,_ZN12_GLOBAL__N_141elementwise_kernel_with_index_grid_strideIlZZZN2at6native15arange_cuda_outERKN3c106ScalarES6_S6_RNS1_6TensorEENKUlvE_clEvENKUlvE0_clEvEUllE_EEvT_T0_PN15function_traitsISD_E11result_typeE,comdat
	.globl	_ZN12_GLOBAL__N_141elementwise_kernel_with_index_grid_strideIlZZZN2at6native15arange_cuda_outERKN3c106ScalarES6_S6_RNS1_6TensorEENKUlvE_clEvENKUlvE0_clEvEUllE_EEvT_T0_PN15function_traitsISD_E11result_typeE ; -- Begin function _ZN12_GLOBAL__N_141elementwise_kernel_with_index_grid_strideIlZZZN2at6native15arange_cuda_outERKN3c106ScalarES6_S6_RNS1_6TensorEENKUlvE_clEvENKUlvE0_clEvEUllE_EEvT_T0_PN15function_traitsISD_E11result_typeE
	.p2align	8
	.type	_ZN12_GLOBAL__N_141elementwise_kernel_with_index_grid_strideIlZZZN2at6native15arange_cuda_outERKN3c106ScalarES6_S6_RNS1_6TensorEENKUlvE_clEvENKUlvE0_clEvEUllE_EEvT_T0_PN15function_traitsISD_E11result_typeE,@function
_ZN12_GLOBAL__N_141elementwise_kernel_with_index_grid_strideIlZZZN2at6native15arange_cuda_outERKN3c106ScalarES6_S6_RNS1_6TensorEENKUlvE_clEvENKUlvE0_clEvEUllE_EEvT_T0_PN15function_traitsISD_E11result_typeE: ; @_ZN12_GLOBAL__N_141elementwise_kernel_with_index_grid_strideIlZZZN2at6native15arange_cuda_outERKN3c106ScalarES6_S6_RNS1_6TensorEENKUlvE_clEvENKUlvE0_clEvEUllE_EEvT_T0_PN15function_traitsISD_E11result_typeE
; %bb.0:
	s_clause 0x1
	s_load_dword s2, s[4:5], 0x2c
	s_load_dwordx8 s[8:15], s[4:5], 0x0
	s_add_u32 s0, s4, 32
	s_addc_u32 s1, s5, 0
	v_mov_b32_e32 v3, 0
	s_waitcnt lgkmcnt(0)
	s_and_b32 s7, s2, 0xffff
	s_mul_i32 s25, s7, s6
	s_mul_hi_u32 s24, s7, s6
	v_add_co_u32 v1, s2, s25, v0
	v_add_co_ci_u32_e64 v2, null, s24, 0, s2
	s_mov_b32 s2, exec_lo
	v_cmpx_gt_i64_e64 s[8:9], v[1:2]
	s_cbranch_execz .LBB65_12
; %bb.1:
	s_load_dword s4, s[0:1], 0x0
	s_mov_b32 s5, 0
	s_waitcnt lgkmcnt(0)
	s_add_u32 s0, s6, s4
	s_addc_u32 s1, 0, 0
	s_mul_hi_u32 s2, s0, s7
	s_mul_i32 s1, s1, s7
	s_mul_i32 s26, s0, s7
	s_add_i32 s27, s2, s1
	v_add_co_u32 v6, s0, s26, v0
	v_add_co_ci_u32_e64 v7, null, s27, 0, s0
	s_mul_hi_u32 s3, s7, s4
	s_mul_i32 s2, s7, s4
	v_cmp_gt_i64_e32 vcc_lo, s[8:9], v[6:7]
	v_cndmask_b32_e64 v5, 0, 1, vcc_lo
	v_cndmask_b32_e64 v4, v7, s9, vcc_lo
	;; [unrolled: 1-line block ×3, first 2 shown]
	v_add_co_u32 v6, vcc_lo, v6, v5
	v_add_co_ci_u32_e64 v7, null, 0, v7, vcc_lo
	v_sub_co_u32 v6, vcc_lo, v8, v6
	v_sub_co_ci_u32_e64 v7, null, v4, v7, vcc_lo
	v_or_b32_e32 v4, s3, v7
	v_cmp_ne_u64_e32 vcc_lo, 0, v[3:4]
                                        ; implicit-def: $vgpr3_vgpr4
	s_and_saveexec_b32 s0, vcc_lo
	s_xor_b32 s1, exec_lo, s0
	s_cbranch_execz .LBB65_3
; %bb.2:
	v_cvt_f32_u32_e32 v3, s2
	v_cvt_f32_u32_e32 v4, s3
	s_sub_u32 s17, 0, s2
	s_subb_u32 s18, 0, s3
	v_fmamk_f32 v3, v4, 0x4f800000, v3
	v_rcp_f32_e32 v3, v3
	v_mul_f32_e32 v3, 0x5f7ffffc, v3
	v_mul_f32_e32 v4, 0x2f800000, v3
	v_trunc_f32_e32 v4, v4
	v_fmamk_f32 v3, v4, 0xcf800000, v3
	v_cvt_u32_f32_e32 v4, v4
	v_cvt_u32_f32_e32 v3, v3
	v_readfirstlane_b32 s0, v4
	v_readfirstlane_b32 s16, v3
	s_mul_i32 s19, s17, s0
	s_mul_hi_u32 s21, s17, s16
	s_mul_i32 s20, s18, s16
	s_add_i32 s19, s21, s19
	s_mul_i32 s22, s17, s16
	s_add_i32 s19, s19, s20
	s_mul_hi_u32 s21, s16, s22
	s_mul_i32 s28, s16, s19
	s_mul_hi_u32 s23, s0, s22
	s_mul_i32 s20, s0, s22
	s_mul_hi_u32 s22, s16, s19
	s_add_u32 s21, s21, s28
	s_addc_u32 s22, 0, s22
	s_mul_hi_u32 s29, s0, s19
	s_add_u32 s20, s21, s20
	s_mul_i32 s19, s0, s19
	s_addc_u32 s20, s22, s23
	s_addc_u32 s21, s29, 0
	s_add_u32 s19, s20, s19
	s_addc_u32 s20, 0, s21
	s_add_u32 s16, s16, s19
	s_cselect_b32 s19, -1, 0
	s_mul_hi_u32 s21, s17, s16
	s_cmp_lg_u32 s19, 0
	s_mul_i32 s19, s17, s16
	s_addc_u32 s0, s0, s20
	s_mul_i32 s18, s18, s16
	s_mul_i32 s17, s17, s0
	s_mul_hi_u32 s20, s16, s19
	s_add_i32 s17, s21, s17
	s_mul_hi_u32 s21, s0, s19
	s_add_i32 s17, s17, s18
	s_mul_i32 s18, s0, s19
	s_mul_i32 s23, s16, s17
	s_mul_hi_u32 s22, s16, s17
	s_add_u32 s20, s20, s23
	s_addc_u32 s22, 0, s22
	s_mul_hi_u32 s19, s0, s17
	s_add_u32 s18, s20, s18
	s_mul_i32 s17, s0, s17
	s_addc_u32 s18, s22, s21
	s_addc_u32 s19, s19, 0
	s_add_u32 s17, s18, s17
	s_addc_u32 s18, 0, s19
	s_add_u32 s16, s16, s17
	s_cselect_b32 s17, -1, 0
	v_mul_hi_u32 v12, v6, s16
	s_cmp_lg_u32 s17, 0
	v_mad_u64_u32 v[8:9], null, v7, s16, 0
	s_addc_u32 s0, s0, s18
	v_mad_u64_u32 v[3:4], null, v6, s0, 0
	v_mad_u64_u32 v[10:11], null, v7, s0, 0
	v_add_co_u32 v3, vcc_lo, v12, v3
	v_add_co_ci_u32_e64 v4, null, 0, v4, vcc_lo
	v_add_co_u32 v3, vcc_lo, v3, v8
	v_add_co_ci_u32_e32 v3, vcc_lo, v4, v9, vcc_lo
	v_add_co_ci_u32_e32 v4, vcc_lo, 0, v11, vcc_lo
	v_add_co_u32 v8, vcc_lo, v3, v10
	v_add_co_ci_u32_e64 v9, null, 0, v4, vcc_lo
	v_mul_lo_u32 v10, s3, v8
	v_mad_u64_u32 v[3:4], null, s2, v8, 0
	v_mul_lo_u32 v11, s2, v9
	v_sub_co_u32 v3, vcc_lo, v6, v3
	v_add3_u32 v4, v4, v11, v10
	v_sub_nc_u32_e32 v10, v7, v4
	v_sub_co_ci_u32_e64 v4, null, v7, v4, vcc_lo
	v_subrev_co_ci_u32_e64 v6, null, s3, v10, vcc_lo
	v_add_co_u32 v10, s0, v8, 2
	v_add_co_ci_u32_e64 v11, null, 0, v9, s0
	v_sub_co_u32 v12, s0, v3, s2
	v_subrev_co_ci_u32_e64 v6, null, 0, v6, s0
	v_cmp_eq_u32_e64 s0, s3, v4
	v_cmp_le_u32_e32 vcc_lo, s2, v12
	v_cndmask_b32_e64 v7, 0, -1, vcc_lo
	v_cmp_le_u32_e32 vcc_lo, s3, v6
	v_cndmask_b32_e64 v12, 0, -1, vcc_lo
	;; [unrolled: 2-line block ×4, first 2 shown]
	v_cmp_eq_u32_e32 vcc_lo, s3, v6
	v_cndmask_b32_e64 v3, v13, v3, s0
	v_cndmask_b32_e32 v6, v12, v7, vcc_lo
	v_add_co_u32 v7, vcc_lo, v8, 1
	v_add_co_ci_u32_e64 v12, null, 0, v9, vcc_lo
	v_cmp_ne_u32_e32 vcc_lo, 0, v6
	v_cndmask_b32_e32 v4, v12, v11, vcc_lo
	v_cndmask_b32_e32 v6, v7, v10, vcc_lo
	v_cmp_ne_u32_e32 vcc_lo, 0, v3
	v_cndmask_b32_e32 v4, v9, v4, vcc_lo
	v_cndmask_b32_e32 v3, v8, v6, vcc_lo
                                        ; implicit-def: $vgpr6
.LBB65_3:
	s_andn2_saveexec_b32 s0, s1
	s_cbranch_execz .LBB65_5
; %bb.4:
	v_cvt_f32_u32_e32 v3, s2
	s_sub_i32 s1, 0, s2
	v_rcp_iflag_f32_e32 v3, v3
	v_mul_f32_e32 v3, 0x4f7ffffe, v3
	v_cvt_u32_f32_e32 v3, v3
	v_mul_lo_u32 v4, s1, v3
	v_mul_hi_u32 v4, v3, v4
	v_add_nc_u32_e32 v3, v3, v4
	v_mul_hi_u32 v3, v6, v3
	v_mul_lo_u32 v4, v3, s2
	v_sub_nc_u32_e32 v4, v6, v4
	v_add_nc_u32_e32 v6, 1, v3
	v_subrev_nc_u32_e32 v7, s2, v4
	v_cmp_le_u32_e32 vcc_lo, s2, v4
	v_cndmask_b32_e32 v4, v4, v7, vcc_lo
	v_cndmask_b32_e32 v3, v3, v6, vcc_lo
	v_cmp_le_u32_e32 vcc_lo, s2, v4
	v_add_nc_u32_e32 v6, 1, v3
	v_mov_b32_e32 v4, 0
	v_cndmask_b32_e32 v3, v3, v6, vcc_lo
.LBB65_5:
	s_or_b32 exec_lo, exec_lo, s0
	v_add_co_u32 v3, vcc_lo, v3, v5
	v_add_co_ci_u32_e64 v4, null, 0, v4, vcc_lo
	s_mov_b32 s0, -1
	v_add_co_u32 v11, vcc_lo, v3, 1
	v_add_co_ci_u32_e64 v12, null, 0, v4, vcc_lo
	s_mov_b32 s28, exec_lo
	v_cmpx_lt_u64_e32 3, v[11:12]
	s_cbranch_execz .LBB65_9
; %bb.6:
	v_mad_u64_u32 v[7:8], null, s2, 3, v[1:2]
	s_mul_i32 s38, s4, 3
	v_mad_u64_u32 v[5:6], null, s2, 2, v[1:2]
	v_mad_u64_u32 v[3:4], null, s2, 1, v[1:2]
	s_lshl_b64 s[22:23], s[2:3], 2
	s_mul_hi_u32 s39, s4, 3
	v_mad_u64_u32 v[8:9], null, s3, 3, v[8:9]
	s_add_u32 s41, s38, s6
	s_addc_u32 s39, s39, 0
	v_mov_b32_e32 v14, v12
	s_mul_i32 s40, s39, s7
	s_mul_hi_u32 s42, s41, s7
	v_and_b32_e32 v13, -4, v11
	s_add_i32 s40, s42, s40
	s_lshl_b64 s[42:43], s[4:5], 1
	v_lshl_add_u32 v6, s3, 1, v6
	v_add_nc_u32_e32 v4, s3, v4
	s_mul_i32 s5, s41, s7
	s_add_u32 s41, s42, s6
	v_add_co_u32 v0, s42, s14, v0
	s_addc_u32 s6, s43, 0
	v_mov_b32_e32 v16, v14
	v_mov_b32_e32 v10, v8
	v_add_co_ci_u32_e64 v17, null, s15, 0, s42
	v_mov_b32_e32 v15, v13
	v_mov_b32_e32 v9, v7
	v_mov_b32_e32 v8, v6
	v_mov_b32_e32 v7, v5
	v_mov_b32_e32 v6, v4
	v_mov_b32_e32 v5, v3
	v_mov_b32_e32 v4, v2
	v_mov_b32_e32 v3, v1
	s_mul_i32 s6, s6, s7
	s_mul_hi_u32 s42, s41, s7
	s_mov_b32 s29, s12
	s_mov_b32 s30, s12
	;; [unrolled: 1-line block ×18, first 2 shown]
	s_add_i32 s6, s42, s6
	s_mul_i32 s42, s41, s7
	s_mov_b32 s41, 0
.LBB65_7:                               ; =>This Inner Loop Header: Depth=1
	v_mad_u64_u32 v[18:19], null, v3, s29, s[0:1]
	v_mad_u64_u32 v[19:20], null, v5, s30, s[16:17]
	;; [unrolled: 1-line block ×4, first 2 shown]
	v_add_co_u32 v22, vcc_lo, v0, s25
	v_add_co_ci_u32_e64 v23, null, s24, v17, vcc_lo
	v_add_co_u32 v24, vcc_lo, v0, s26
	v_add_co_ci_u32_e64 v25, null, s27, v17, vcc_lo
	;; [unrolled: 2-line block ×6, first 2 shown]
	v_add_co_u32 v5, vcc_lo, v5, s34
	v_lshlrev_b16 v19, 8, v19
	v_add_co_ci_u32_e64 v6, null, s35, v6, vcc_lo
	v_add_co_u32 v3, vcc_lo, v3, s22
	v_add_co_ci_u32_e64 v4, null, s23, v4, vcc_lo
	v_add_co_u32 v15, vcc_lo, v15, -4
	v_or_b32_sdwa v18, v18, v19 dst_sel:DWORD dst_unused:UNUSED_PAD src0_sel:BYTE_0 src1_sel:DWORD
	v_add_co_ci_u32_e64 v16, null, -1, v16, vcc_lo
	v_lshlrev_b16 v21, 8, v21
	v_add_co_u32 v0, vcc_lo, v0, s22
	v_and_b32_e32 v18, 0xffff, v18
	v_add_co_ci_u32_e64 v17, null, s23, v17, vcc_lo
	v_cmp_eq_u64_e32 vcc_lo, 0, v[15:16]
	v_or_b32_sdwa v19, v20, v21 dst_sel:DWORD dst_unused:UNUSED_PAD src0_sel:BYTE_0 src1_sel:DWORD
	v_lshrrev_b32_e32 v21, 8, v18
	v_lshrrev_b32_e32 v20, 8, v19
	s_or_b32 s41, vcc_lo, s41
	global_store_byte v[22:23], v18, off
	global_store_byte v[24:25], v21, off
	;; [unrolled: 1-line block ×4, first 2 shown]
	s_andn2_b32 exec_lo, exec_lo, s41
	s_cbranch_execnz .LBB65_7
; %bb.8:
	s_or_b32 exec_lo, exec_lo, s41
	v_mad_u64_u32 v[1:2], null, v13, s2, v[1:2]
	v_mul_lo_u32 v0, v13, s3
	v_mul_lo_u32 v3, v14, s2
	v_cmp_ne_u64_e32 vcc_lo, v[11:12], v[13:14]
	s_orn2_b32 s0, vcc_lo, exec_lo
	v_add3_u32 v2, v3, v2, v0
.LBB65_9:
	s_or_b32 exec_lo, exec_lo, s28
	s_and_b32 exec_lo, exec_lo, s0
	s_cbranch_execz .LBB65_12
; %bb.10:
	v_mad_u64_u32 v[3:4], null, v1, s12, s[10:11]
	v_mul_lo_u32 v0, v1, s13
	v_mul_lo_u32 v5, v2, s12
	s_mul_i32 s0, s13, s7
	s_mul_hi_u32 s1, s12, s7
	s_mul_i32 s5, s12, s7
	s_add_i32 s0, s1, s0
	s_mul_hi_u32 s1, s5, s4
	s_mul_i32 s0, s0, s4
	s_mul_i32 s4, s5, s4
	v_add3_u32 v4, v5, v4, v0
	s_add_i32 s1, s1, s0
	s_mov_b32 s5, 0
	.p2align	6
.LBB65_11:                              ; =>This Inner Loop Header: Depth=1
	v_add_co_u32 v5, vcc_lo, s14, v1
	v_add_co_ci_u32_e64 v6, null, s15, v2, vcc_lo
	v_add_co_u32 v1, vcc_lo, v1, s2
	v_add_co_ci_u32_e64 v2, null, s3, v2, vcc_lo
	global_store_byte v[5:6], v3, off
	v_add_co_u32 v3, s0, v3, s4
	v_cmp_le_i64_e32 vcc_lo, s[8:9], v[1:2]
	v_add_co_ci_u32_e64 v4, null, s1, v4, s0
	s_or_b32 s5, vcc_lo, s5
	s_andn2_b32 exec_lo, exec_lo, s5
	s_cbranch_execnz .LBB65_11
.LBB65_12:
	s_endpgm
	.section	.rodata,"a",@progbits
	.p2align	6, 0x0
	.amdhsa_kernel _ZN12_GLOBAL__N_141elementwise_kernel_with_index_grid_strideIlZZZN2at6native15arange_cuda_outERKN3c106ScalarES6_S6_RNS1_6TensorEENKUlvE_clEvENKUlvE0_clEvEUllE_EEvT_T0_PN15function_traitsISD_E11result_typeE
		.amdhsa_group_segment_fixed_size 0
		.amdhsa_private_segment_fixed_size 0
		.amdhsa_kernarg_size 288
		.amdhsa_user_sgpr_count 6
		.amdhsa_user_sgpr_private_segment_buffer 1
		.amdhsa_user_sgpr_dispatch_ptr 0
		.amdhsa_user_sgpr_queue_ptr 0
		.amdhsa_user_sgpr_kernarg_segment_ptr 1
		.amdhsa_user_sgpr_dispatch_id 0
		.amdhsa_user_sgpr_flat_scratch_init 0
		.amdhsa_user_sgpr_private_segment_size 0
		.amdhsa_wavefront_size32 1
		.amdhsa_uses_dynamic_stack 0
		.amdhsa_system_sgpr_private_segment_wavefront_offset 0
		.amdhsa_system_sgpr_workgroup_id_x 1
		.amdhsa_system_sgpr_workgroup_id_y 0
		.amdhsa_system_sgpr_workgroup_id_z 0
		.amdhsa_system_sgpr_workgroup_info 0
		.amdhsa_system_vgpr_workitem_id 0
		.amdhsa_next_free_vgpr 30
		.amdhsa_next_free_sgpr 44
		.amdhsa_reserve_vcc 1
		.amdhsa_reserve_flat_scratch 0
		.amdhsa_float_round_mode_32 0
		.amdhsa_float_round_mode_16_64 0
		.amdhsa_float_denorm_mode_32 3
		.amdhsa_float_denorm_mode_16_64 3
		.amdhsa_dx10_clamp 1
		.amdhsa_ieee_mode 1
		.amdhsa_fp16_overflow 0
		.amdhsa_workgroup_processor_mode 1
		.amdhsa_memory_ordered 1
		.amdhsa_forward_progress 1
		.amdhsa_shared_vgpr_count 0
		.amdhsa_exception_fp_ieee_invalid_op 0
		.amdhsa_exception_fp_denorm_src 0
		.amdhsa_exception_fp_ieee_div_zero 0
		.amdhsa_exception_fp_ieee_overflow 0
		.amdhsa_exception_fp_ieee_underflow 0
		.amdhsa_exception_fp_ieee_inexact 0
		.amdhsa_exception_int_div_zero 0
	.end_amdhsa_kernel
	.section	.text._ZN12_GLOBAL__N_141elementwise_kernel_with_index_grid_strideIlZZZN2at6native15arange_cuda_outERKN3c106ScalarES6_S6_RNS1_6TensorEENKUlvE_clEvENKUlvE0_clEvEUllE_EEvT_T0_PN15function_traitsISD_E11result_typeE,"axG",@progbits,_ZN12_GLOBAL__N_141elementwise_kernel_with_index_grid_strideIlZZZN2at6native15arange_cuda_outERKN3c106ScalarES6_S6_RNS1_6TensorEENKUlvE_clEvENKUlvE0_clEvEUllE_EEvT_T0_PN15function_traitsISD_E11result_typeE,comdat
.Lfunc_end65:
	.size	_ZN12_GLOBAL__N_141elementwise_kernel_with_index_grid_strideIlZZZN2at6native15arange_cuda_outERKN3c106ScalarES6_S6_RNS1_6TensorEENKUlvE_clEvENKUlvE0_clEvEUllE_EEvT_T0_PN15function_traitsISD_E11result_typeE, .Lfunc_end65-_ZN12_GLOBAL__N_141elementwise_kernel_with_index_grid_strideIlZZZN2at6native15arange_cuda_outERKN3c106ScalarES6_S6_RNS1_6TensorEENKUlvE_clEvENKUlvE0_clEvEUllE_EEvT_T0_PN15function_traitsISD_E11result_typeE
                                        ; -- End function
	.set _ZN12_GLOBAL__N_141elementwise_kernel_with_index_grid_strideIlZZZN2at6native15arange_cuda_outERKN3c106ScalarES6_S6_RNS1_6TensorEENKUlvE_clEvENKUlvE0_clEvEUllE_EEvT_T0_PN15function_traitsISD_E11result_typeE.num_vgpr, 30
	.set _ZN12_GLOBAL__N_141elementwise_kernel_with_index_grid_strideIlZZZN2at6native15arange_cuda_outERKN3c106ScalarES6_S6_RNS1_6TensorEENKUlvE_clEvENKUlvE0_clEvEUllE_EEvT_T0_PN15function_traitsISD_E11result_typeE.num_agpr, 0
	.set _ZN12_GLOBAL__N_141elementwise_kernel_with_index_grid_strideIlZZZN2at6native15arange_cuda_outERKN3c106ScalarES6_S6_RNS1_6TensorEENKUlvE_clEvENKUlvE0_clEvEUllE_EEvT_T0_PN15function_traitsISD_E11result_typeE.numbered_sgpr, 44
	.set _ZN12_GLOBAL__N_141elementwise_kernel_with_index_grid_strideIlZZZN2at6native15arange_cuda_outERKN3c106ScalarES6_S6_RNS1_6TensorEENKUlvE_clEvENKUlvE0_clEvEUllE_EEvT_T0_PN15function_traitsISD_E11result_typeE.num_named_barrier, 0
	.set _ZN12_GLOBAL__N_141elementwise_kernel_with_index_grid_strideIlZZZN2at6native15arange_cuda_outERKN3c106ScalarES6_S6_RNS1_6TensorEENKUlvE_clEvENKUlvE0_clEvEUllE_EEvT_T0_PN15function_traitsISD_E11result_typeE.private_seg_size, 0
	.set _ZN12_GLOBAL__N_141elementwise_kernel_with_index_grid_strideIlZZZN2at6native15arange_cuda_outERKN3c106ScalarES6_S6_RNS1_6TensorEENKUlvE_clEvENKUlvE0_clEvEUllE_EEvT_T0_PN15function_traitsISD_E11result_typeE.uses_vcc, 1
	.set _ZN12_GLOBAL__N_141elementwise_kernel_with_index_grid_strideIlZZZN2at6native15arange_cuda_outERKN3c106ScalarES6_S6_RNS1_6TensorEENKUlvE_clEvENKUlvE0_clEvEUllE_EEvT_T0_PN15function_traitsISD_E11result_typeE.uses_flat_scratch, 0
	.set _ZN12_GLOBAL__N_141elementwise_kernel_with_index_grid_strideIlZZZN2at6native15arange_cuda_outERKN3c106ScalarES6_S6_RNS1_6TensorEENKUlvE_clEvENKUlvE0_clEvEUllE_EEvT_T0_PN15function_traitsISD_E11result_typeE.has_dyn_sized_stack, 0
	.set _ZN12_GLOBAL__N_141elementwise_kernel_with_index_grid_strideIlZZZN2at6native15arange_cuda_outERKN3c106ScalarES6_S6_RNS1_6TensorEENKUlvE_clEvENKUlvE0_clEvEUllE_EEvT_T0_PN15function_traitsISD_E11result_typeE.has_recursion, 0
	.set _ZN12_GLOBAL__N_141elementwise_kernel_with_index_grid_strideIlZZZN2at6native15arange_cuda_outERKN3c106ScalarES6_S6_RNS1_6TensorEENKUlvE_clEvENKUlvE0_clEvEUllE_EEvT_T0_PN15function_traitsISD_E11result_typeE.has_indirect_call, 0
	.section	.AMDGPU.csdata,"",@progbits
; Kernel info:
; codeLenInByte = 1676
; TotalNumSgprs: 46
; NumVgprs: 30
; ScratchSize: 0
; MemoryBound: 0
; FloatMode: 240
; IeeeMode: 1
; LDSByteSize: 0 bytes/workgroup (compile time only)
; SGPRBlocks: 0
; VGPRBlocks: 3
; NumSGPRsForWavesPerEU: 46
; NumVGPRsForWavesPerEU: 30
; Occupancy: 16
; WaveLimiterHint : 0
; COMPUTE_PGM_RSRC2:SCRATCH_EN: 0
; COMPUTE_PGM_RSRC2:USER_SGPR: 6
; COMPUTE_PGM_RSRC2:TRAP_HANDLER: 0
; COMPUTE_PGM_RSRC2:TGID_X_EN: 1
; COMPUTE_PGM_RSRC2:TGID_Y_EN: 0
; COMPUTE_PGM_RSRC2:TGID_Z_EN: 0
; COMPUTE_PGM_RSRC2:TIDIG_COMP_CNT: 0
	.section	.text._ZN12_GLOBAL__N_141elementwise_kernel_with_index_grid_strideIiZZZN2at6native15arange_cuda_outERKN3c106ScalarES6_S6_RNS1_6TensorEENKUlvE_clEvENKUlvE1_clEvEUllE_EEvT_T0_PN15function_traitsISD_E11result_typeE,"axG",@progbits,_ZN12_GLOBAL__N_141elementwise_kernel_with_index_grid_strideIiZZZN2at6native15arange_cuda_outERKN3c106ScalarES6_S6_RNS1_6TensorEENKUlvE_clEvENKUlvE1_clEvEUllE_EEvT_T0_PN15function_traitsISD_E11result_typeE,comdat
	.globl	_ZN12_GLOBAL__N_141elementwise_kernel_with_index_grid_strideIiZZZN2at6native15arange_cuda_outERKN3c106ScalarES6_S6_RNS1_6TensorEENKUlvE_clEvENKUlvE1_clEvEUllE_EEvT_T0_PN15function_traitsISD_E11result_typeE ; -- Begin function _ZN12_GLOBAL__N_141elementwise_kernel_with_index_grid_strideIiZZZN2at6native15arange_cuda_outERKN3c106ScalarES6_S6_RNS1_6TensorEENKUlvE_clEvENKUlvE1_clEvEUllE_EEvT_T0_PN15function_traitsISD_E11result_typeE
	.p2align	8
	.type	_ZN12_GLOBAL__N_141elementwise_kernel_with_index_grid_strideIiZZZN2at6native15arange_cuda_outERKN3c106ScalarES6_S6_RNS1_6TensorEENKUlvE_clEvENKUlvE1_clEvEUllE_EEvT_T0_PN15function_traitsISD_E11result_typeE,@function
_ZN12_GLOBAL__N_141elementwise_kernel_with_index_grid_strideIiZZZN2at6native15arange_cuda_outERKN3c106ScalarES6_S6_RNS1_6TensorEENKUlvE_clEvENKUlvE1_clEvEUllE_EEvT_T0_PN15function_traitsISD_E11result_typeE: ; @_ZN12_GLOBAL__N_141elementwise_kernel_with_index_grid_strideIiZZZN2at6native15arange_cuda_outERKN3c106ScalarES6_S6_RNS1_6TensorEENKUlvE_clEvENKUlvE1_clEvEUllE_EEvT_T0_PN15function_traitsISD_E11result_typeE
; %bb.0:
	s_clause 0x1
	s_load_dword s2, s[4:5], 0x2c
	s_load_dword s7, s[4:5], 0x0
	s_add_u32 s0, s4, 32
	s_addc_u32 s1, s5, 0
	s_mov_b32 s3, exec_lo
	s_waitcnt lgkmcnt(0)
	s_and_b32 s2, s2, 0xffff
	v_mad_u64_u32 v[0:1], null, s6, s2, v[0:1]
	v_cmpx_gt_i32_e64 s7, v0
	s_cbranch_execz .LBB66_3
; %bb.1:
	s_load_dword s3, s[0:1], 0x0
	s_clause 0x1
	s_load_dwordx4 s[8:11], s[4:5], 0x8
	s_load_dwordx2 s[0:1], s[4:5], 0x18
	v_ashrrev_i32_e32 v1, 31, v0
	v_lshlrev_b64 v[3:4], 2, v[0:1]
	s_waitcnt lgkmcnt(0)
	s_mul_i32 s2, s3, s2
	v_mad_u64_u32 v[1:2], null, v0, s10, s[8:9]
	v_add_co_u32 v2, vcc_lo, s0, v3
	v_add_co_ci_u32_e64 v3, null, s1, v4, vcc_lo
	s_ashr_i32 s3, s2, 31
	s_mul_i32 s1, s2, s10
	s_lshl_b64 s[4:5], s[2:3], 2
	s_mov_b32 s3, 0
.LBB66_2:                               ; =>This Inner Loop Header: Depth=1
	v_add_nc_u32_e32 v0, s2, v0
	global_store_dword v[2:3], v1, off
	v_add_co_u32 v2, vcc_lo, v2, s4
	v_add_co_ci_u32_e64 v3, null, s5, v3, vcc_lo
	v_cmp_le_i32_e64 s0, s7, v0
	v_add_nc_u32_e32 v1, s1, v1
	s_or_b32 s3, s0, s3
	s_andn2_b32 exec_lo, exec_lo, s3
	s_cbranch_execnz .LBB66_2
.LBB66_3:
	s_endpgm
	.section	.rodata,"a",@progbits
	.p2align	6, 0x0
	.amdhsa_kernel _ZN12_GLOBAL__N_141elementwise_kernel_with_index_grid_strideIiZZZN2at6native15arange_cuda_outERKN3c106ScalarES6_S6_RNS1_6TensorEENKUlvE_clEvENKUlvE1_clEvEUllE_EEvT_T0_PN15function_traitsISD_E11result_typeE
		.amdhsa_group_segment_fixed_size 0
		.amdhsa_private_segment_fixed_size 0
		.amdhsa_kernarg_size 288
		.amdhsa_user_sgpr_count 6
		.amdhsa_user_sgpr_private_segment_buffer 1
		.amdhsa_user_sgpr_dispatch_ptr 0
		.amdhsa_user_sgpr_queue_ptr 0
		.amdhsa_user_sgpr_kernarg_segment_ptr 1
		.amdhsa_user_sgpr_dispatch_id 0
		.amdhsa_user_sgpr_flat_scratch_init 0
		.amdhsa_user_sgpr_private_segment_size 0
		.amdhsa_wavefront_size32 1
		.amdhsa_uses_dynamic_stack 0
		.amdhsa_system_sgpr_private_segment_wavefront_offset 0
		.amdhsa_system_sgpr_workgroup_id_x 1
		.amdhsa_system_sgpr_workgroup_id_y 0
		.amdhsa_system_sgpr_workgroup_id_z 0
		.amdhsa_system_sgpr_workgroup_info 0
		.amdhsa_system_vgpr_workitem_id 0
		.amdhsa_next_free_vgpr 5
		.amdhsa_next_free_sgpr 12
		.amdhsa_reserve_vcc 1
		.amdhsa_reserve_flat_scratch 0
		.amdhsa_float_round_mode_32 0
		.amdhsa_float_round_mode_16_64 0
		.amdhsa_float_denorm_mode_32 3
		.amdhsa_float_denorm_mode_16_64 3
		.amdhsa_dx10_clamp 1
		.amdhsa_ieee_mode 1
		.amdhsa_fp16_overflow 0
		.amdhsa_workgroup_processor_mode 1
		.amdhsa_memory_ordered 1
		.amdhsa_forward_progress 1
		.amdhsa_shared_vgpr_count 0
		.amdhsa_exception_fp_ieee_invalid_op 0
		.amdhsa_exception_fp_denorm_src 0
		.amdhsa_exception_fp_ieee_div_zero 0
		.amdhsa_exception_fp_ieee_overflow 0
		.amdhsa_exception_fp_ieee_underflow 0
		.amdhsa_exception_fp_ieee_inexact 0
		.amdhsa_exception_int_div_zero 0
	.end_amdhsa_kernel
	.section	.text._ZN12_GLOBAL__N_141elementwise_kernel_with_index_grid_strideIiZZZN2at6native15arange_cuda_outERKN3c106ScalarES6_S6_RNS1_6TensorEENKUlvE_clEvENKUlvE1_clEvEUllE_EEvT_T0_PN15function_traitsISD_E11result_typeE,"axG",@progbits,_ZN12_GLOBAL__N_141elementwise_kernel_with_index_grid_strideIiZZZN2at6native15arange_cuda_outERKN3c106ScalarES6_S6_RNS1_6TensorEENKUlvE_clEvENKUlvE1_clEvEUllE_EEvT_T0_PN15function_traitsISD_E11result_typeE,comdat
.Lfunc_end66:
	.size	_ZN12_GLOBAL__N_141elementwise_kernel_with_index_grid_strideIiZZZN2at6native15arange_cuda_outERKN3c106ScalarES6_S6_RNS1_6TensorEENKUlvE_clEvENKUlvE1_clEvEUllE_EEvT_T0_PN15function_traitsISD_E11result_typeE, .Lfunc_end66-_ZN12_GLOBAL__N_141elementwise_kernel_with_index_grid_strideIiZZZN2at6native15arange_cuda_outERKN3c106ScalarES6_S6_RNS1_6TensorEENKUlvE_clEvENKUlvE1_clEvEUllE_EEvT_T0_PN15function_traitsISD_E11result_typeE
                                        ; -- End function
	.set _ZN12_GLOBAL__N_141elementwise_kernel_with_index_grid_strideIiZZZN2at6native15arange_cuda_outERKN3c106ScalarES6_S6_RNS1_6TensorEENKUlvE_clEvENKUlvE1_clEvEUllE_EEvT_T0_PN15function_traitsISD_E11result_typeE.num_vgpr, 5
	.set _ZN12_GLOBAL__N_141elementwise_kernel_with_index_grid_strideIiZZZN2at6native15arange_cuda_outERKN3c106ScalarES6_S6_RNS1_6TensorEENKUlvE_clEvENKUlvE1_clEvEUllE_EEvT_T0_PN15function_traitsISD_E11result_typeE.num_agpr, 0
	.set _ZN12_GLOBAL__N_141elementwise_kernel_with_index_grid_strideIiZZZN2at6native15arange_cuda_outERKN3c106ScalarES6_S6_RNS1_6TensorEENKUlvE_clEvENKUlvE1_clEvEUllE_EEvT_T0_PN15function_traitsISD_E11result_typeE.numbered_sgpr, 12
	.set _ZN12_GLOBAL__N_141elementwise_kernel_with_index_grid_strideIiZZZN2at6native15arange_cuda_outERKN3c106ScalarES6_S6_RNS1_6TensorEENKUlvE_clEvENKUlvE1_clEvEUllE_EEvT_T0_PN15function_traitsISD_E11result_typeE.num_named_barrier, 0
	.set _ZN12_GLOBAL__N_141elementwise_kernel_with_index_grid_strideIiZZZN2at6native15arange_cuda_outERKN3c106ScalarES6_S6_RNS1_6TensorEENKUlvE_clEvENKUlvE1_clEvEUllE_EEvT_T0_PN15function_traitsISD_E11result_typeE.private_seg_size, 0
	.set _ZN12_GLOBAL__N_141elementwise_kernel_with_index_grid_strideIiZZZN2at6native15arange_cuda_outERKN3c106ScalarES6_S6_RNS1_6TensorEENKUlvE_clEvENKUlvE1_clEvEUllE_EEvT_T0_PN15function_traitsISD_E11result_typeE.uses_vcc, 1
	.set _ZN12_GLOBAL__N_141elementwise_kernel_with_index_grid_strideIiZZZN2at6native15arange_cuda_outERKN3c106ScalarES6_S6_RNS1_6TensorEENKUlvE_clEvENKUlvE1_clEvEUllE_EEvT_T0_PN15function_traitsISD_E11result_typeE.uses_flat_scratch, 0
	.set _ZN12_GLOBAL__N_141elementwise_kernel_with_index_grid_strideIiZZZN2at6native15arange_cuda_outERKN3c106ScalarES6_S6_RNS1_6TensorEENKUlvE_clEvENKUlvE1_clEvEUllE_EEvT_T0_PN15function_traitsISD_E11result_typeE.has_dyn_sized_stack, 0
	.set _ZN12_GLOBAL__N_141elementwise_kernel_with_index_grid_strideIiZZZN2at6native15arange_cuda_outERKN3c106ScalarES6_S6_RNS1_6TensorEENKUlvE_clEvENKUlvE1_clEvEUllE_EEvT_T0_PN15function_traitsISD_E11result_typeE.has_recursion, 0
	.set _ZN12_GLOBAL__N_141elementwise_kernel_with_index_grid_strideIiZZZN2at6native15arange_cuda_outERKN3c106ScalarES6_S6_RNS1_6TensorEENKUlvE_clEvENKUlvE1_clEvEUllE_EEvT_T0_PN15function_traitsISD_E11result_typeE.has_indirect_call, 0
	.section	.AMDGPU.csdata,"",@progbits
; Kernel info:
; codeLenInByte = 208
; TotalNumSgprs: 14
; NumVgprs: 5
; ScratchSize: 0
; MemoryBound: 0
; FloatMode: 240
; IeeeMode: 1
; LDSByteSize: 0 bytes/workgroup (compile time only)
; SGPRBlocks: 0
; VGPRBlocks: 0
; NumSGPRsForWavesPerEU: 14
; NumVGPRsForWavesPerEU: 5
; Occupancy: 16
; WaveLimiterHint : 0
; COMPUTE_PGM_RSRC2:SCRATCH_EN: 0
; COMPUTE_PGM_RSRC2:USER_SGPR: 6
; COMPUTE_PGM_RSRC2:TRAP_HANDLER: 0
; COMPUTE_PGM_RSRC2:TGID_X_EN: 1
; COMPUTE_PGM_RSRC2:TGID_Y_EN: 0
; COMPUTE_PGM_RSRC2:TGID_Z_EN: 0
; COMPUTE_PGM_RSRC2:TIDIG_COMP_CNT: 0
	.section	.text._ZN12_GLOBAL__N_141elementwise_kernel_with_index_grid_strideIlZZZN2at6native15arange_cuda_outERKN3c106ScalarES6_S6_RNS1_6TensorEENKUlvE_clEvENKUlvE1_clEvEUllE_EEvT_T0_PN15function_traitsISD_E11result_typeE,"axG",@progbits,_ZN12_GLOBAL__N_141elementwise_kernel_with_index_grid_strideIlZZZN2at6native15arange_cuda_outERKN3c106ScalarES6_S6_RNS1_6TensorEENKUlvE_clEvENKUlvE1_clEvEUllE_EEvT_T0_PN15function_traitsISD_E11result_typeE,comdat
	.globl	_ZN12_GLOBAL__N_141elementwise_kernel_with_index_grid_strideIlZZZN2at6native15arange_cuda_outERKN3c106ScalarES6_S6_RNS1_6TensorEENKUlvE_clEvENKUlvE1_clEvEUllE_EEvT_T0_PN15function_traitsISD_E11result_typeE ; -- Begin function _ZN12_GLOBAL__N_141elementwise_kernel_with_index_grid_strideIlZZZN2at6native15arange_cuda_outERKN3c106ScalarES6_S6_RNS1_6TensorEENKUlvE_clEvENKUlvE1_clEvEUllE_EEvT_T0_PN15function_traitsISD_E11result_typeE
	.p2align	8
	.type	_ZN12_GLOBAL__N_141elementwise_kernel_with_index_grid_strideIlZZZN2at6native15arange_cuda_outERKN3c106ScalarES6_S6_RNS1_6TensorEENKUlvE_clEvENKUlvE1_clEvEUllE_EEvT_T0_PN15function_traitsISD_E11result_typeE,@function
_ZN12_GLOBAL__N_141elementwise_kernel_with_index_grid_strideIlZZZN2at6native15arange_cuda_outERKN3c106ScalarES6_S6_RNS1_6TensorEENKUlvE_clEvENKUlvE1_clEvEUllE_EEvT_T0_PN15function_traitsISD_E11result_typeE: ; @_ZN12_GLOBAL__N_141elementwise_kernel_with_index_grid_strideIlZZZN2at6native15arange_cuda_outERKN3c106ScalarES6_S6_RNS1_6TensorEENKUlvE_clEvENKUlvE1_clEvEUllE_EEvT_T0_PN15function_traitsISD_E11result_typeE
; %bb.0:
	s_clause 0x1
	s_load_dword s2, s[4:5], 0x2c
	s_load_dwordx8 s[8:15], s[4:5], 0x0
	v_mov_b32_e32 v1, 0
	s_add_u32 s0, s4, 32
	s_addc_u32 s1, s5, 0
	s_waitcnt lgkmcnt(0)
	s_and_b32 s3, s2, 0xffff
	s_mov_b32 s2, exec_lo
	v_mad_u64_u32 v[1:2], null, s3, s6, v[0:1]
	v_cmpx_gt_i64_e64 s[8:9], v[1:2]
	s_cbranch_execz .LBB67_3
; %bb.1:
	s_load_dword s0, s[0:1], 0x0
	v_mad_u64_u32 v[3:4], null, s6, s3, v[0:1]
	v_lshlrev_b64 v[5:6], 2, v[1:2]
	s_mov_b32 s1, 0
	v_mad_u64_u32 v[3:4], null, v3, s12, s[10:11]
	v_add_co_u32 v4, vcc_lo, s14, v5
	v_add_co_ci_u32_e64 v5, null, s15, v6, vcc_lo
	s_waitcnt lgkmcnt(0)
	s_mul_i32 s2, s3, s0
	s_mul_hi_u32 s3, s3, s0
	s_mul_i32 s6, s2, s12
	s_lshl_b64 s[4:5], s[2:3], 2
.LBB67_2:                               ; =>This Inner Loop Header: Depth=1
	v_add_co_u32 v1, vcc_lo, v1, s2
	v_add_co_ci_u32_e64 v2, null, s3, v2, vcc_lo
	global_store_dword v[4:5], v3, off
	v_add_co_u32 v4, s0, v4, s4
	v_cmp_le_i64_e32 vcc_lo, s[8:9], v[1:2]
	v_add_nc_u32_e32 v3, s6, v3
	v_add_co_ci_u32_e64 v5, null, s5, v5, s0
	s_or_b32 s1, vcc_lo, s1
	s_andn2_b32 exec_lo, exec_lo, s1
	s_cbranch_execnz .LBB67_2
.LBB67_3:
	s_endpgm
	.section	.rodata,"a",@progbits
	.p2align	6, 0x0
	.amdhsa_kernel _ZN12_GLOBAL__N_141elementwise_kernel_with_index_grid_strideIlZZZN2at6native15arange_cuda_outERKN3c106ScalarES6_S6_RNS1_6TensorEENKUlvE_clEvENKUlvE1_clEvEUllE_EEvT_T0_PN15function_traitsISD_E11result_typeE
		.amdhsa_group_segment_fixed_size 0
		.amdhsa_private_segment_fixed_size 0
		.amdhsa_kernarg_size 288
		.amdhsa_user_sgpr_count 6
		.amdhsa_user_sgpr_private_segment_buffer 1
		.amdhsa_user_sgpr_dispatch_ptr 0
		.amdhsa_user_sgpr_queue_ptr 0
		.amdhsa_user_sgpr_kernarg_segment_ptr 1
		.amdhsa_user_sgpr_dispatch_id 0
		.amdhsa_user_sgpr_flat_scratch_init 0
		.amdhsa_user_sgpr_private_segment_size 0
		.amdhsa_wavefront_size32 1
		.amdhsa_uses_dynamic_stack 0
		.amdhsa_system_sgpr_private_segment_wavefront_offset 0
		.amdhsa_system_sgpr_workgroup_id_x 1
		.amdhsa_system_sgpr_workgroup_id_y 0
		.amdhsa_system_sgpr_workgroup_id_z 0
		.amdhsa_system_sgpr_workgroup_info 0
		.amdhsa_system_vgpr_workitem_id 0
		.amdhsa_next_free_vgpr 7
		.amdhsa_next_free_sgpr 16
		.amdhsa_reserve_vcc 1
		.amdhsa_reserve_flat_scratch 0
		.amdhsa_float_round_mode_32 0
		.amdhsa_float_round_mode_16_64 0
		.amdhsa_float_denorm_mode_32 3
		.amdhsa_float_denorm_mode_16_64 3
		.amdhsa_dx10_clamp 1
		.amdhsa_ieee_mode 1
		.amdhsa_fp16_overflow 0
		.amdhsa_workgroup_processor_mode 1
		.amdhsa_memory_ordered 1
		.amdhsa_forward_progress 1
		.amdhsa_shared_vgpr_count 0
		.amdhsa_exception_fp_ieee_invalid_op 0
		.amdhsa_exception_fp_denorm_src 0
		.amdhsa_exception_fp_ieee_div_zero 0
		.amdhsa_exception_fp_ieee_overflow 0
		.amdhsa_exception_fp_ieee_underflow 0
		.amdhsa_exception_fp_ieee_inexact 0
		.amdhsa_exception_int_div_zero 0
	.end_amdhsa_kernel
	.section	.text._ZN12_GLOBAL__N_141elementwise_kernel_with_index_grid_strideIlZZZN2at6native15arange_cuda_outERKN3c106ScalarES6_S6_RNS1_6TensorEENKUlvE_clEvENKUlvE1_clEvEUllE_EEvT_T0_PN15function_traitsISD_E11result_typeE,"axG",@progbits,_ZN12_GLOBAL__N_141elementwise_kernel_with_index_grid_strideIlZZZN2at6native15arange_cuda_outERKN3c106ScalarES6_S6_RNS1_6TensorEENKUlvE_clEvENKUlvE1_clEvEUllE_EEvT_T0_PN15function_traitsISD_E11result_typeE,comdat
.Lfunc_end67:
	.size	_ZN12_GLOBAL__N_141elementwise_kernel_with_index_grid_strideIlZZZN2at6native15arange_cuda_outERKN3c106ScalarES6_S6_RNS1_6TensorEENKUlvE_clEvENKUlvE1_clEvEUllE_EEvT_T0_PN15function_traitsISD_E11result_typeE, .Lfunc_end67-_ZN12_GLOBAL__N_141elementwise_kernel_with_index_grid_strideIlZZZN2at6native15arange_cuda_outERKN3c106ScalarES6_S6_RNS1_6TensorEENKUlvE_clEvENKUlvE1_clEvEUllE_EEvT_T0_PN15function_traitsISD_E11result_typeE
                                        ; -- End function
	.set _ZN12_GLOBAL__N_141elementwise_kernel_with_index_grid_strideIlZZZN2at6native15arange_cuda_outERKN3c106ScalarES6_S6_RNS1_6TensorEENKUlvE_clEvENKUlvE1_clEvEUllE_EEvT_T0_PN15function_traitsISD_E11result_typeE.num_vgpr, 7
	.set _ZN12_GLOBAL__N_141elementwise_kernel_with_index_grid_strideIlZZZN2at6native15arange_cuda_outERKN3c106ScalarES6_S6_RNS1_6TensorEENKUlvE_clEvENKUlvE1_clEvEUllE_EEvT_T0_PN15function_traitsISD_E11result_typeE.num_agpr, 0
	.set _ZN12_GLOBAL__N_141elementwise_kernel_with_index_grid_strideIlZZZN2at6native15arange_cuda_outERKN3c106ScalarES6_S6_RNS1_6TensorEENKUlvE_clEvENKUlvE1_clEvEUllE_EEvT_T0_PN15function_traitsISD_E11result_typeE.numbered_sgpr, 16
	.set _ZN12_GLOBAL__N_141elementwise_kernel_with_index_grid_strideIlZZZN2at6native15arange_cuda_outERKN3c106ScalarES6_S6_RNS1_6TensorEENKUlvE_clEvENKUlvE1_clEvEUllE_EEvT_T0_PN15function_traitsISD_E11result_typeE.num_named_barrier, 0
	.set _ZN12_GLOBAL__N_141elementwise_kernel_with_index_grid_strideIlZZZN2at6native15arange_cuda_outERKN3c106ScalarES6_S6_RNS1_6TensorEENKUlvE_clEvENKUlvE1_clEvEUllE_EEvT_T0_PN15function_traitsISD_E11result_typeE.private_seg_size, 0
	.set _ZN12_GLOBAL__N_141elementwise_kernel_with_index_grid_strideIlZZZN2at6native15arange_cuda_outERKN3c106ScalarES6_S6_RNS1_6TensorEENKUlvE_clEvENKUlvE1_clEvEUllE_EEvT_T0_PN15function_traitsISD_E11result_typeE.uses_vcc, 1
	.set _ZN12_GLOBAL__N_141elementwise_kernel_with_index_grid_strideIlZZZN2at6native15arange_cuda_outERKN3c106ScalarES6_S6_RNS1_6TensorEENKUlvE_clEvENKUlvE1_clEvEUllE_EEvT_T0_PN15function_traitsISD_E11result_typeE.uses_flat_scratch, 0
	.set _ZN12_GLOBAL__N_141elementwise_kernel_with_index_grid_strideIlZZZN2at6native15arange_cuda_outERKN3c106ScalarES6_S6_RNS1_6TensorEENKUlvE_clEvENKUlvE1_clEvEUllE_EEvT_T0_PN15function_traitsISD_E11result_typeE.has_dyn_sized_stack, 0
	.set _ZN12_GLOBAL__N_141elementwise_kernel_with_index_grid_strideIlZZZN2at6native15arange_cuda_outERKN3c106ScalarES6_S6_RNS1_6TensorEENKUlvE_clEvENKUlvE1_clEvEUllE_EEvT_T0_PN15function_traitsISD_E11result_typeE.has_recursion, 0
	.set _ZN12_GLOBAL__N_141elementwise_kernel_with_index_grid_strideIlZZZN2at6native15arange_cuda_outERKN3c106ScalarES6_S6_RNS1_6TensorEENKUlvE_clEvENKUlvE1_clEvEUllE_EEvT_T0_PN15function_traitsISD_E11result_typeE.has_indirect_call, 0
	.section	.AMDGPU.csdata,"",@progbits
; Kernel info:
; codeLenInByte = 204
; TotalNumSgprs: 18
; NumVgprs: 7
; ScratchSize: 0
; MemoryBound: 0
; FloatMode: 240
; IeeeMode: 1
; LDSByteSize: 0 bytes/workgroup (compile time only)
; SGPRBlocks: 0
; VGPRBlocks: 0
; NumSGPRsForWavesPerEU: 18
; NumVGPRsForWavesPerEU: 7
; Occupancy: 16
; WaveLimiterHint : 0
; COMPUTE_PGM_RSRC2:SCRATCH_EN: 0
; COMPUTE_PGM_RSRC2:USER_SGPR: 6
; COMPUTE_PGM_RSRC2:TRAP_HANDLER: 0
; COMPUTE_PGM_RSRC2:TGID_X_EN: 1
; COMPUTE_PGM_RSRC2:TGID_Y_EN: 0
; COMPUTE_PGM_RSRC2:TGID_Z_EN: 0
; COMPUTE_PGM_RSRC2:TIDIG_COMP_CNT: 0
	.section	.text._ZN12_GLOBAL__N_141elementwise_kernel_with_index_grid_strideIiZZZN2at6native15arange_cuda_outERKN3c106ScalarES6_S6_RNS1_6TensorEENKUlvE_clEvENKUlvE2_clEvEUllE_EEvT_T0_PN15function_traitsISD_E11result_typeE,"axG",@progbits,_ZN12_GLOBAL__N_141elementwise_kernel_with_index_grid_strideIiZZZN2at6native15arange_cuda_outERKN3c106ScalarES6_S6_RNS1_6TensorEENKUlvE_clEvENKUlvE2_clEvEUllE_EEvT_T0_PN15function_traitsISD_E11result_typeE,comdat
	.globl	_ZN12_GLOBAL__N_141elementwise_kernel_with_index_grid_strideIiZZZN2at6native15arange_cuda_outERKN3c106ScalarES6_S6_RNS1_6TensorEENKUlvE_clEvENKUlvE2_clEvEUllE_EEvT_T0_PN15function_traitsISD_E11result_typeE ; -- Begin function _ZN12_GLOBAL__N_141elementwise_kernel_with_index_grid_strideIiZZZN2at6native15arange_cuda_outERKN3c106ScalarES6_S6_RNS1_6TensorEENKUlvE_clEvENKUlvE2_clEvEUllE_EEvT_T0_PN15function_traitsISD_E11result_typeE
	.p2align	8
	.type	_ZN12_GLOBAL__N_141elementwise_kernel_with_index_grid_strideIiZZZN2at6native15arange_cuda_outERKN3c106ScalarES6_S6_RNS1_6TensorEENKUlvE_clEvENKUlvE2_clEvEUllE_EEvT_T0_PN15function_traitsISD_E11result_typeE,@function
_ZN12_GLOBAL__N_141elementwise_kernel_with_index_grid_strideIiZZZN2at6native15arange_cuda_outERKN3c106ScalarES6_S6_RNS1_6TensorEENKUlvE_clEvENKUlvE2_clEvEUllE_EEvT_T0_PN15function_traitsISD_E11result_typeE: ; @_ZN12_GLOBAL__N_141elementwise_kernel_with_index_grid_strideIiZZZN2at6native15arange_cuda_outERKN3c106ScalarES6_S6_RNS1_6TensorEENKUlvE_clEvENKUlvE2_clEvEUllE_EEvT_T0_PN15function_traitsISD_E11result_typeE
; %bb.0:
	s_clause 0x1
	s_load_dword s2, s[4:5], 0x2c
	s_load_dword s7, s[4:5], 0x0
	s_add_u32 s0, s4, 32
	s_addc_u32 s1, s5, 0
	s_mov_b32 s3, exec_lo
	s_waitcnt lgkmcnt(0)
	s_and_b32 s2, s2, 0xffff
	v_mad_u64_u32 v[0:1], null, s6, s2, v[0:1]
	v_cmpx_gt_i32_e64 s7, v0
	s_cbranch_execz .LBB68_3
; %bb.1:
	s_load_dword s3, s[0:1], 0x0
	s_clause 0x1
	s_load_dwordx4 s[8:11], s[4:5], 0x8
	s_load_dwordx2 s[0:1], s[4:5], 0x18
	v_ashrrev_i32_e32 v1, 31, v0
	s_mov_b32 s6, 0
	v_lshlrev_b64 v[3:4], 3, v[0:1]
	s_waitcnt lgkmcnt(0)
	s_mul_i32 s2, s3, s2
	v_mul_lo_u32 v5, s11, v0
	v_mul_lo_u32 v6, s10, v1
	v_mad_u64_u32 v[1:2], null, s10, v0, s[8:9]
	s_ashr_i32 s3, s2, 31
	v_add_co_u32 v3, vcc_lo, s0, v3
	v_add_co_ci_u32_e64 v4, null, s1, v4, vcc_lo
	s_mul_i32 s0, s10, s3
	s_mul_hi_u32 s1, s10, s2
	v_add3_u32 v2, v5, v2, v6
	s_add_i32 s0, s1, s0
	s_mul_i32 s1, s11, s2
	s_lshl_b64 s[4:5], s[2:3], 3
	s_add_i32 s1, s0, s1
	s_mul_i32 s3, s10, s2
.LBB68_2:                               ; =>This Inner Loop Header: Depth=1
	v_add_nc_u32_e32 v0, s2, v0
	global_store_dwordx2 v[3:4], v[1:2], off
	v_add_co_u32 v3, vcc_lo, v3, s4
	v_add_co_ci_u32_e64 v4, null, s5, v4, vcc_lo
	v_cmp_le_i32_e32 vcc_lo, s7, v0
	v_add_co_u32 v1, s0, v1, s3
	v_add_co_ci_u32_e64 v2, null, s1, v2, s0
	s_or_b32 s6, vcc_lo, s6
	s_andn2_b32 exec_lo, exec_lo, s6
	s_cbranch_execnz .LBB68_2
.LBB68_3:
	s_endpgm
	.section	.rodata,"a",@progbits
	.p2align	6, 0x0
	.amdhsa_kernel _ZN12_GLOBAL__N_141elementwise_kernel_with_index_grid_strideIiZZZN2at6native15arange_cuda_outERKN3c106ScalarES6_S6_RNS1_6TensorEENKUlvE_clEvENKUlvE2_clEvEUllE_EEvT_T0_PN15function_traitsISD_E11result_typeE
		.amdhsa_group_segment_fixed_size 0
		.amdhsa_private_segment_fixed_size 0
		.amdhsa_kernarg_size 288
		.amdhsa_user_sgpr_count 6
		.amdhsa_user_sgpr_private_segment_buffer 1
		.amdhsa_user_sgpr_dispatch_ptr 0
		.amdhsa_user_sgpr_queue_ptr 0
		.amdhsa_user_sgpr_kernarg_segment_ptr 1
		.amdhsa_user_sgpr_dispatch_id 0
		.amdhsa_user_sgpr_flat_scratch_init 0
		.amdhsa_user_sgpr_private_segment_size 0
		.amdhsa_wavefront_size32 1
		.amdhsa_uses_dynamic_stack 0
		.amdhsa_system_sgpr_private_segment_wavefront_offset 0
		.amdhsa_system_sgpr_workgroup_id_x 1
		.amdhsa_system_sgpr_workgroup_id_y 0
		.amdhsa_system_sgpr_workgroup_id_z 0
		.amdhsa_system_sgpr_workgroup_info 0
		.amdhsa_system_vgpr_workitem_id 0
		.amdhsa_next_free_vgpr 7
		.amdhsa_next_free_sgpr 12
		.amdhsa_reserve_vcc 1
		.amdhsa_reserve_flat_scratch 0
		.amdhsa_float_round_mode_32 0
		.amdhsa_float_round_mode_16_64 0
		.amdhsa_float_denorm_mode_32 3
		.amdhsa_float_denorm_mode_16_64 3
		.amdhsa_dx10_clamp 1
		.amdhsa_ieee_mode 1
		.amdhsa_fp16_overflow 0
		.amdhsa_workgroup_processor_mode 1
		.amdhsa_memory_ordered 1
		.amdhsa_forward_progress 1
		.amdhsa_shared_vgpr_count 0
		.amdhsa_exception_fp_ieee_invalid_op 0
		.amdhsa_exception_fp_denorm_src 0
		.amdhsa_exception_fp_ieee_div_zero 0
		.amdhsa_exception_fp_ieee_overflow 0
		.amdhsa_exception_fp_ieee_underflow 0
		.amdhsa_exception_fp_ieee_inexact 0
		.amdhsa_exception_int_div_zero 0
	.end_amdhsa_kernel
	.section	.text._ZN12_GLOBAL__N_141elementwise_kernel_with_index_grid_strideIiZZZN2at6native15arange_cuda_outERKN3c106ScalarES6_S6_RNS1_6TensorEENKUlvE_clEvENKUlvE2_clEvEUllE_EEvT_T0_PN15function_traitsISD_E11result_typeE,"axG",@progbits,_ZN12_GLOBAL__N_141elementwise_kernel_with_index_grid_strideIiZZZN2at6native15arange_cuda_outERKN3c106ScalarES6_S6_RNS1_6TensorEENKUlvE_clEvENKUlvE2_clEvEUllE_EEvT_T0_PN15function_traitsISD_E11result_typeE,comdat
.Lfunc_end68:
	.size	_ZN12_GLOBAL__N_141elementwise_kernel_with_index_grid_strideIiZZZN2at6native15arange_cuda_outERKN3c106ScalarES6_S6_RNS1_6TensorEENKUlvE_clEvENKUlvE2_clEvEUllE_EEvT_T0_PN15function_traitsISD_E11result_typeE, .Lfunc_end68-_ZN12_GLOBAL__N_141elementwise_kernel_with_index_grid_strideIiZZZN2at6native15arange_cuda_outERKN3c106ScalarES6_S6_RNS1_6TensorEENKUlvE_clEvENKUlvE2_clEvEUllE_EEvT_T0_PN15function_traitsISD_E11result_typeE
                                        ; -- End function
	.set _ZN12_GLOBAL__N_141elementwise_kernel_with_index_grid_strideIiZZZN2at6native15arange_cuda_outERKN3c106ScalarES6_S6_RNS1_6TensorEENKUlvE_clEvENKUlvE2_clEvEUllE_EEvT_T0_PN15function_traitsISD_E11result_typeE.num_vgpr, 7
	.set _ZN12_GLOBAL__N_141elementwise_kernel_with_index_grid_strideIiZZZN2at6native15arange_cuda_outERKN3c106ScalarES6_S6_RNS1_6TensorEENKUlvE_clEvENKUlvE2_clEvEUllE_EEvT_T0_PN15function_traitsISD_E11result_typeE.num_agpr, 0
	.set _ZN12_GLOBAL__N_141elementwise_kernel_with_index_grid_strideIiZZZN2at6native15arange_cuda_outERKN3c106ScalarES6_S6_RNS1_6TensorEENKUlvE_clEvENKUlvE2_clEvEUllE_EEvT_T0_PN15function_traitsISD_E11result_typeE.numbered_sgpr, 12
	.set _ZN12_GLOBAL__N_141elementwise_kernel_with_index_grid_strideIiZZZN2at6native15arange_cuda_outERKN3c106ScalarES6_S6_RNS1_6TensorEENKUlvE_clEvENKUlvE2_clEvEUllE_EEvT_T0_PN15function_traitsISD_E11result_typeE.num_named_barrier, 0
	.set _ZN12_GLOBAL__N_141elementwise_kernel_with_index_grid_strideIiZZZN2at6native15arange_cuda_outERKN3c106ScalarES6_S6_RNS1_6TensorEENKUlvE_clEvENKUlvE2_clEvEUllE_EEvT_T0_PN15function_traitsISD_E11result_typeE.private_seg_size, 0
	.set _ZN12_GLOBAL__N_141elementwise_kernel_with_index_grid_strideIiZZZN2at6native15arange_cuda_outERKN3c106ScalarES6_S6_RNS1_6TensorEENKUlvE_clEvENKUlvE2_clEvEUllE_EEvT_T0_PN15function_traitsISD_E11result_typeE.uses_vcc, 1
	.set _ZN12_GLOBAL__N_141elementwise_kernel_with_index_grid_strideIiZZZN2at6native15arange_cuda_outERKN3c106ScalarES6_S6_RNS1_6TensorEENKUlvE_clEvENKUlvE2_clEvEUllE_EEvT_T0_PN15function_traitsISD_E11result_typeE.uses_flat_scratch, 0
	.set _ZN12_GLOBAL__N_141elementwise_kernel_with_index_grid_strideIiZZZN2at6native15arange_cuda_outERKN3c106ScalarES6_S6_RNS1_6TensorEENKUlvE_clEvENKUlvE2_clEvEUllE_EEvT_T0_PN15function_traitsISD_E11result_typeE.has_dyn_sized_stack, 0
	.set _ZN12_GLOBAL__N_141elementwise_kernel_with_index_grid_strideIiZZZN2at6native15arange_cuda_outERKN3c106ScalarES6_S6_RNS1_6TensorEENKUlvE_clEvENKUlvE2_clEvEUllE_EEvT_T0_PN15function_traitsISD_E11result_typeE.has_recursion, 0
	.set _ZN12_GLOBAL__N_141elementwise_kernel_with_index_grid_strideIiZZZN2at6native15arange_cuda_outERKN3c106ScalarES6_S6_RNS1_6TensorEENKUlvE_clEvENKUlvE2_clEvEUllE_EEvT_T0_PN15function_traitsISD_E11result_typeE.has_indirect_call, 0
	.section	.AMDGPU.csdata,"",@progbits
; Kernel info:
; codeLenInByte = 260
; TotalNumSgprs: 14
; NumVgprs: 7
; ScratchSize: 0
; MemoryBound: 0
; FloatMode: 240
; IeeeMode: 1
; LDSByteSize: 0 bytes/workgroup (compile time only)
; SGPRBlocks: 0
; VGPRBlocks: 0
; NumSGPRsForWavesPerEU: 14
; NumVGPRsForWavesPerEU: 7
; Occupancy: 16
; WaveLimiterHint : 0
; COMPUTE_PGM_RSRC2:SCRATCH_EN: 0
; COMPUTE_PGM_RSRC2:USER_SGPR: 6
; COMPUTE_PGM_RSRC2:TRAP_HANDLER: 0
; COMPUTE_PGM_RSRC2:TGID_X_EN: 1
; COMPUTE_PGM_RSRC2:TGID_Y_EN: 0
; COMPUTE_PGM_RSRC2:TGID_Z_EN: 0
; COMPUTE_PGM_RSRC2:TIDIG_COMP_CNT: 0
	.section	.text._ZN12_GLOBAL__N_141elementwise_kernel_with_index_grid_strideIlZZZN2at6native15arange_cuda_outERKN3c106ScalarES6_S6_RNS1_6TensorEENKUlvE_clEvENKUlvE2_clEvEUllE_EEvT_T0_PN15function_traitsISD_E11result_typeE,"axG",@progbits,_ZN12_GLOBAL__N_141elementwise_kernel_with_index_grid_strideIlZZZN2at6native15arange_cuda_outERKN3c106ScalarES6_S6_RNS1_6TensorEENKUlvE_clEvENKUlvE2_clEvEUllE_EEvT_T0_PN15function_traitsISD_E11result_typeE,comdat
	.globl	_ZN12_GLOBAL__N_141elementwise_kernel_with_index_grid_strideIlZZZN2at6native15arange_cuda_outERKN3c106ScalarES6_S6_RNS1_6TensorEENKUlvE_clEvENKUlvE2_clEvEUllE_EEvT_T0_PN15function_traitsISD_E11result_typeE ; -- Begin function _ZN12_GLOBAL__N_141elementwise_kernel_with_index_grid_strideIlZZZN2at6native15arange_cuda_outERKN3c106ScalarES6_S6_RNS1_6TensorEENKUlvE_clEvENKUlvE2_clEvEUllE_EEvT_T0_PN15function_traitsISD_E11result_typeE
	.p2align	8
	.type	_ZN12_GLOBAL__N_141elementwise_kernel_with_index_grid_strideIlZZZN2at6native15arange_cuda_outERKN3c106ScalarES6_S6_RNS1_6TensorEENKUlvE_clEvENKUlvE2_clEvEUllE_EEvT_T0_PN15function_traitsISD_E11result_typeE,@function
_ZN12_GLOBAL__N_141elementwise_kernel_with_index_grid_strideIlZZZN2at6native15arange_cuda_outERKN3c106ScalarES6_S6_RNS1_6TensorEENKUlvE_clEvENKUlvE2_clEvEUllE_EEvT_T0_PN15function_traitsISD_E11result_typeE: ; @_ZN12_GLOBAL__N_141elementwise_kernel_with_index_grid_strideIlZZZN2at6native15arange_cuda_outERKN3c106ScalarES6_S6_RNS1_6TensorEENKUlvE_clEvENKUlvE2_clEvEUllE_EEvT_T0_PN15function_traitsISD_E11result_typeE
; %bb.0:
	s_clause 0x1
	s_load_dword s2, s[4:5], 0x2c
	s_load_dwordx8 s[8:15], s[4:5], 0x0
	v_mov_b32_e32 v1, 0
	s_add_u32 s0, s4, 32
	s_addc_u32 s1, s5, 0
	s_waitcnt lgkmcnt(0)
	s_and_b32 s3, s2, 0xffff
	s_mov_b32 s2, exec_lo
	v_mad_u64_u32 v[0:1], null, s3, s6, v[0:1]
	v_cmpx_gt_i64_e64 s[8:9], v[0:1]
	s_cbranch_execz .LBB69_3
; %bb.1:
	s_load_dword s0, s[0:1], 0x0
	v_mul_lo_u32 v6, s12, v1
	v_mul_lo_u32 v7, s13, v0
	v_lshlrev_b64 v[4:5], 3, v[0:1]
	v_mad_u64_u32 v[2:3], null, s12, v0, s[10:11]
	s_mov_b32 s1, 0
	v_add_co_u32 v4, vcc_lo, s14, v4
	v_add_co_ci_u32_e64 v5, null, s15, v5, vcc_lo
	v_add3_u32 v3, v7, v3, v6
	s_waitcnt lgkmcnt(0)
	s_mul_i32 s2, s3, s0
	s_mul_hi_u32 s3, s3, s0
	s_mul_i32 s0, s2, s13
	s_mul_hi_u32 s4, s2, s12
	s_mul_i32 s5, s3, s12
	s_add_i32 s0, s4, s0
	s_mul_i32 s6, s2, s12
	s_add_i32 s7, s0, s5
	s_lshl_b64 s[4:5], s[2:3], 3
	.p2align	6
.LBB69_2:                               ; =>This Inner Loop Header: Depth=1
	v_add_co_u32 v0, vcc_lo, v0, s2
	v_add_co_ci_u32_e64 v1, null, s3, v1, vcc_lo
	global_store_dwordx2 v[4:5], v[2:3], off
	v_add_co_u32 v2, vcc_lo, v2, s6
	v_add_co_ci_u32_e64 v3, null, s7, v3, vcc_lo
	v_cmp_le_i64_e32 vcc_lo, s[8:9], v[0:1]
	v_add_co_u32 v4, s0, v4, s4
	v_add_co_ci_u32_e64 v5, null, s5, v5, s0
	s_or_b32 s1, vcc_lo, s1
	s_andn2_b32 exec_lo, exec_lo, s1
	s_cbranch_execnz .LBB69_2
.LBB69_3:
	s_endpgm
	.section	.rodata,"a",@progbits
	.p2align	6, 0x0
	.amdhsa_kernel _ZN12_GLOBAL__N_141elementwise_kernel_with_index_grid_strideIlZZZN2at6native15arange_cuda_outERKN3c106ScalarES6_S6_RNS1_6TensorEENKUlvE_clEvENKUlvE2_clEvEUllE_EEvT_T0_PN15function_traitsISD_E11result_typeE
		.amdhsa_group_segment_fixed_size 0
		.amdhsa_private_segment_fixed_size 0
		.amdhsa_kernarg_size 288
		.amdhsa_user_sgpr_count 6
		.amdhsa_user_sgpr_private_segment_buffer 1
		.amdhsa_user_sgpr_dispatch_ptr 0
		.amdhsa_user_sgpr_queue_ptr 0
		.amdhsa_user_sgpr_kernarg_segment_ptr 1
		.amdhsa_user_sgpr_dispatch_id 0
		.amdhsa_user_sgpr_flat_scratch_init 0
		.amdhsa_user_sgpr_private_segment_size 0
		.amdhsa_wavefront_size32 1
		.amdhsa_uses_dynamic_stack 0
		.amdhsa_system_sgpr_private_segment_wavefront_offset 0
		.amdhsa_system_sgpr_workgroup_id_x 1
		.amdhsa_system_sgpr_workgroup_id_y 0
		.amdhsa_system_sgpr_workgroup_id_z 0
		.amdhsa_system_sgpr_workgroup_info 0
		.amdhsa_system_vgpr_workitem_id 0
		.amdhsa_next_free_vgpr 8
		.amdhsa_next_free_sgpr 16
		.amdhsa_reserve_vcc 1
		.amdhsa_reserve_flat_scratch 0
		.amdhsa_float_round_mode_32 0
		.amdhsa_float_round_mode_16_64 0
		.amdhsa_float_denorm_mode_32 3
		.amdhsa_float_denorm_mode_16_64 3
		.amdhsa_dx10_clamp 1
		.amdhsa_ieee_mode 1
		.amdhsa_fp16_overflow 0
		.amdhsa_workgroup_processor_mode 1
		.amdhsa_memory_ordered 1
		.amdhsa_forward_progress 1
		.amdhsa_shared_vgpr_count 0
		.amdhsa_exception_fp_ieee_invalid_op 0
		.amdhsa_exception_fp_denorm_src 0
		.amdhsa_exception_fp_ieee_div_zero 0
		.amdhsa_exception_fp_ieee_overflow 0
		.amdhsa_exception_fp_ieee_underflow 0
		.amdhsa_exception_fp_ieee_inexact 0
		.amdhsa_exception_int_div_zero 0
	.end_amdhsa_kernel
	.section	.text._ZN12_GLOBAL__N_141elementwise_kernel_with_index_grid_strideIlZZZN2at6native15arange_cuda_outERKN3c106ScalarES6_S6_RNS1_6TensorEENKUlvE_clEvENKUlvE2_clEvEUllE_EEvT_T0_PN15function_traitsISD_E11result_typeE,"axG",@progbits,_ZN12_GLOBAL__N_141elementwise_kernel_with_index_grid_strideIlZZZN2at6native15arange_cuda_outERKN3c106ScalarES6_S6_RNS1_6TensorEENKUlvE_clEvENKUlvE2_clEvEUllE_EEvT_T0_PN15function_traitsISD_E11result_typeE,comdat
.Lfunc_end69:
	.size	_ZN12_GLOBAL__N_141elementwise_kernel_with_index_grid_strideIlZZZN2at6native15arange_cuda_outERKN3c106ScalarES6_S6_RNS1_6TensorEENKUlvE_clEvENKUlvE2_clEvEUllE_EEvT_T0_PN15function_traitsISD_E11result_typeE, .Lfunc_end69-_ZN12_GLOBAL__N_141elementwise_kernel_with_index_grid_strideIlZZZN2at6native15arange_cuda_outERKN3c106ScalarES6_S6_RNS1_6TensorEENKUlvE_clEvENKUlvE2_clEvEUllE_EEvT_T0_PN15function_traitsISD_E11result_typeE
                                        ; -- End function
	.set _ZN12_GLOBAL__N_141elementwise_kernel_with_index_grid_strideIlZZZN2at6native15arange_cuda_outERKN3c106ScalarES6_S6_RNS1_6TensorEENKUlvE_clEvENKUlvE2_clEvEUllE_EEvT_T0_PN15function_traitsISD_E11result_typeE.num_vgpr, 8
	.set _ZN12_GLOBAL__N_141elementwise_kernel_with_index_grid_strideIlZZZN2at6native15arange_cuda_outERKN3c106ScalarES6_S6_RNS1_6TensorEENKUlvE_clEvENKUlvE2_clEvEUllE_EEvT_T0_PN15function_traitsISD_E11result_typeE.num_agpr, 0
	.set _ZN12_GLOBAL__N_141elementwise_kernel_with_index_grid_strideIlZZZN2at6native15arange_cuda_outERKN3c106ScalarES6_S6_RNS1_6TensorEENKUlvE_clEvENKUlvE2_clEvEUllE_EEvT_T0_PN15function_traitsISD_E11result_typeE.numbered_sgpr, 16
	.set _ZN12_GLOBAL__N_141elementwise_kernel_with_index_grid_strideIlZZZN2at6native15arange_cuda_outERKN3c106ScalarES6_S6_RNS1_6TensorEENKUlvE_clEvENKUlvE2_clEvEUllE_EEvT_T0_PN15function_traitsISD_E11result_typeE.num_named_barrier, 0
	.set _ZN12_GLOBAL__N_141elementwise_kernel_with_index_grid_strideIlZZZN2at6native15arange_cuda_outERKN3c106ScalarES6_S6_RNS1_6TensorEENKUlvE_clEvENKUlvE2_clEvEUllE_EEvT_T0_PN15function_traitsISD_E11result_typeE.private_seg_size, 0
	.set _ZN12_GLOBAL__N_141elementwise_kernel_with_index_grid_strideIlZZZN2at6native15arange_cuda_outERKN3c106ScalarES6_S6_RNS1_6TensorEENKUlvE_clEvENKUlvE2_clEvEUllE_EEvT_T0_PN15function_traitsISD_E11result_typeE.uses_vcc, 1
	.set _ZN12_GLOBAL__N_141elementwise_kernel_with_index_grid_strideIlZZZN2at6native15arange_cuda_outERKN3c106ScalarES6_S6_RNS1_6TensorEENKUlvE_clEvENKUlvE2_clEvEUllE_EEvT_T0_PN15function_traitsISD_E11result_typeE.uses_flat_scratch, 0
	.set _ZN12_GLOBAL__N_141elementwise_kernel_with_index_grid_strideIlZZZN2at6native15arange_cuda_outERKN3c106ScalarES6_S6_RNS1_6TensorEENKUlvE_clEvENKUlvE2_clEvEUllE_EEvT_T0_PN15function_traitsISD_E11result_typeE.has_dyn_sized_stack, 0
	.set _ZN12_GLOBAL__N_141elementwise_kernel_with_index_grid_strideIlZZZN2at6native15arange_cuda_outERKN3c106ScalarES6_S6_RNS1_6TensorEENKUlvE_clEvENKUlvE2_clEvEUllE_EEvT_T0_PN15function_traitsISD_E11result_typeE.has_recursion, 0
	.set _ZN12_GLOBAL__N_141elementwise_kernel_with_index_grid_strideIlZZZN2at6native15arange_cuda_outERKN3c106ScalarES6_S6_RNS1_6TensorEENKUlvE_clEvENKUlvE2_clEvEUllE_EEvT_T0_PN15function_traitsISD_E11result_typeE.has_indirect_call, 0
	.section	.AMDGPU.csdata,"",@progbits
; Kernel info:
; codeLenInByte = 268
; TotalNumSgprs: 18
; NumVgprs: 8
; ScratchSize: 0
; MemoryBound: 0
; FloatMode: 240
; IeeeMode: 1
; LDSByteSize: 0 bytes/workgroup (compile time only)
; SGPRBlocks: 0
; VGPRBlocks: 0
; NumSGPRsForWavesPerEU: 18
; NumVGPRsForWavesPerEU: 8
; Occupancy: 16
; WaveLimiterHint : 0
; COMPUTE_PGM_RSRC2:SCRATCH_EN: 0
; COMPUTE_PGM_RSRC2:USER_SGPR: 6
; COMPUTE_PGM_RSRC2:TRAP_HANDLER: 0
; COMPUTE_PGM_RSRC2:TGID_X_EN: 1
; COMPUTE_PGM_RSRC2:TGID_Y_EN: 0
; COMPUTE_PGM_RSRC2:TGID_Z_EN: 0
; COMPUTE_PGM_RSRC2:TIDIG_COMP_CNT: 0
	.section	.text._ZN12_GLOBAL__N_141elementwise_kernel_with_index_grid_strideIiZZZN2at6native15arange_cuda_outERKN3c106ScalarES6_S6_RNS1_6TensorEENKUlvE_clEvENKUlvE3_clEvEUllE_EEvT_T0_PN15function_traitsISD_E11result_typeE,"axG",@progbits,_ZN12_GLOBAL__N_141elementwise_kernel_with_index_grid_strideIiZZZN2at6native15arange_cuda_outERKN3c106ScalarES6_S6_RNS1_6TensorEENKUlvE_clEvENKUlvE3_clEvEUllE_EEvT_T0_PN15function_traitsISD_E11result_typeE,comdat
	.globl	_ZN12_GLOBAL__N_141elementwise_kernel_with_index_grid_strideIiZZZN2at6native15arange_cuda_outERKN3c106ScalarES6_S6_RNS1_6TensorEENKUlvE_clEvENKUlvE3_clEvEUllE_EEvT_T0_PN15function_traitsISD_E11result_typeE ; -- Begin function _ZN12_GLOBAL__N_141elementwise_kernel_with_index_grid_strideIiZZZN2at6native15arange_cuda_outERKN3c106ScalarES6_S6_RNS1_6TensorEENKUlvE_clEvENKUlvE3_clEvEUllE_EEvT_T0_PN15function_traitsISD_E11result_typeE
	.p2align	8
	.type	_ZN12_GLOBAL__N_141elementwise_kernel_with_index_grid_strideIiZZZN2at6native15arange_cuda_outERKN3c106ScalarES6_S6_RNS1_6TensorEENKUlvE_clEvENKUlvE3_clEvEUllE_EEvT_T0_PN15function_traitsISD_E11result_typeE,@function
_ZN12_GLOBAL__N_141elementwise_kernel_with_index_grid_strideIiZZZN2at6native15arange_cuda_outERKN3c106ScalarES6_S6_RNS1_6TensorEENKUlvE_clEvENKUlvE3_clEvEUllE_EEvT_T0_PN15function_traitsISD_E11result_typeE: ; @_ZN12_GLOBAL__N_141elementwise_kernel_with_index_grid_strideIiZZZN2at6native15arange_cuda_outERKN3c106ScalarES6_S6_RNS1_6TensorEENKUlvE_clEvENKUlvE3_clEvEUllE_EEvT_T0_PN15function_traitsISD_E11result_typeE
; %bb.0:
	s_clause 0x1
	s_load_dword s2, s[4:5], 0x2c
	s_load_dword s7, s[4:5], 0x0
	s_add_u32 s0, s4, 32
	s_addc_u32 s1, s5, 0
	s_waitcnt lgkmcnt(0)
	s_and_b32 s3, s2, 0xffff
	s_mov_b32 s2, exec_lo
	v_mad_u64_u32 v[1:2], null, s6, s3, v[0:1]
	v_cmpx_gt_i32_e64 s7, v1
	s_cbranch_execz .LBB70_8
; %bb.1:
	s_load_dword s0, s[0:1], 0x0
	s_clause 0x1
	s_load_dwordx4 s[8:11], s[4:5], 0x8
	s_load_dwordx2 s[4:5], s[4:5], 0x18
	s_waitcnt lgkmcnt(0)
	s_mul_i32 s2, s0, s3
	s_add_i32 s0, s6, s0
	v_cvt_f32_u32_e32 v2, s2
	s_sub_i32 s1, 0, s2
	s_mul_i32 s0, s0, s3
	s_mov_b32 s3, 0
	v_add_nc_u32_e32 v4, s0, v0
	v_rcp_iflag_f32_e32 v2, v2
	v_cmp_gt_i32_e32 vcc_lo, s7, v4
	v_max_i32_e32 v5, s7, v4
	v_add_co_ci_u32_e64 v0, null, s0, v0, vcc_lo
	v_mul_f32_e32 v2, 0x4f7ffffe, v2
	v_sub_nc_u32_e32 v0, v5, v0
	v_cvt_u32_f32_e32 v2, v2
	v_mul_lo_u32 v3, s1, v2
	s_mov_b32 s1, exec_lo
	v_mul_hi_u32 v3, v2, v3
	v_add_nc_u32_e32 v2, v2, v3
	v_mul_hi_u32 v2, v0, v2
	v_mul_lo_u32 v3, v2, s2
	v_sub_nc_u32_e32 v0, v0, v3
	v_add_nc_u32_e32 v3, 1, v2
	v_subrev_nc_u32_e32 v4, s2, v0
	v_cmp_le_u32_e64 s0, s2, v0
	v_cndmask_b32_e64 v2, v2, v3, s0
	v_cndmask_b32_e64 v0, v0, v4, s0
	v_add_nc_u32_e32 v3, 1, v2
	v_cmp_le_u32_e64 s0, s2, v0
	v_cndmask_b32_e64 v0, v2, v3, s0
	s_mov_b32 s0, -1
	v_add_co_ci_u32_e64 v0, null, 1, v0, vcc_lo
	v_cmpx_lt_u32_e32 1, v0
	s_cbranch_execz .LBB70_5
; %bb.2:
	v_add_nc_u32_e32 v2, s2, v1
	v_and_b32_e32 v4, -2, v0
	s_lshl_b32 s15, s2, 1
	s_mov_b32 s13, s10
	s_mov_b32 s14, s10
	v_mov_b32_e32 v3, v2
	v_mov_b32_e32 v5, v4
	;; [unrolled: 1-line block ×3, first 2 shown]
	s_mov_b32 s6, s8
	s_mov_b32 s12, s8
	;; [unrolled: 1-line block ×3, first 2 shown]
	.p2align	6
.LBB70_3:                               ; =>This Inner Loop Header: Depth=1
	v_ashrrev_i32_e32 v9, 31, v2
	v_mov_b32_e32 v8, v2
	v_ashrrev_i32_e32 v7, 31, v3
	v_mov_b32_e32 v6, v3
	v_add_nc_u32_e32 v5, -2, v5
	v_mad_u64_u32 v[10:11], null, s14, v3, s[12:13]
	v_lshlrev_b64 v[8:9], 1, v[8:9]
	v_lshlrev_b64 v[6:7], 1, v[6:7]
	v_mad_u64_u32 v[11:12], null, s13, v2, s[6:7]
	v_cmp_eq_u32_e32 vcc_lo, 0, v5
	v_add_nc_u32_e32 v3, s16, v3
	v_add_co_u32 v8, s0, s4, v8
	v_add_co_ci_u32_e64 v9, null, s5, v9, s0
	v_add_co_u32 v6, s0, s4, v6
	v_add_nc_u32_e32 v2, s15, v2
	v_add_co_ci_u32_e64 v7, null, s5, v7, s0
	s_or_b32 s3, vcc_lo, s3
	global_store_short v[8:9], v11, off
	global_store_short v[6:7], v10, off
	s_andn2_b32 exec_lo, exec_lo, s3
	s_cbranch_execnz .LBB70_3
; %bb.4:
	s_or_b32 exec_lo, exec_lo, s3
	v_mad_u64_u32 v[1:2], null, v4, s2, v[1:2]
	v_cmp_ne_u32_e32 vcc_lo, v0, v4
	s_orn2_b32 s0, vcc_lo, exec_lo
.LBB70_5:
	s_or_b32 exec_lo, exec_lo, s1
	s_and_b32 exec_lo, exec_lo, s0
	s_cbranch_execz .LBB70_8
; %bb.6:
	v_ashrrev_i32_e32 v2, 31, v1
	v_mad_u64_u32 v[3:4], null, s10, v1, s[8:9]
	v_mul_lo_u32 v0, s11, v1
	s_ashr_i32 s3, s2, 31
	v_lshlrev_b64 v[5:6], 1, v[1:2]
	v_mul_lo_u32 v2, s10, v2
	s_mul_hi_u32 s0, s10, s2
	s_mul_i32 s1, s10, s3
	s_mov_b32 s6, 0
	s_add_i32 s0, s0, s1
	v_add_co_u32 v5, vcc_lo, s4, v5
	v_add_co_ci_u32_e64 v6, null, s5, v6, vcc_lo
	v_add3_u32 v4, v0, v4, v2
	s_mul_i32 s1, s11, s2
	s_lshl_b64 s[4:5], s[2:3], 1
	s_add_i32 s1, s0, s1
	s_mul_i32 s3, s10, s2
.LBB70_7:                               ; =>This Inner Loop Header: Depth=1
	v_add_nc_u32_e32 v1, s2, v1
	global_store_short v[5:6], v3, off
	v_add_co_u32 v5, vcc_lo, v5, s4
	v_add_co_ci_u32_e64 v6, null, s5, v6, vcc_lo
	v_cmp_le_i32_e32 vcc_lo, s7, v1
	v_add_co_u32 v3, s0, v3, s3
	v_add_co_ci_u32_e64 v4, null, s1, v4, s0
	s_or_b32 s6, vcc_lo, s6
	s_andn2_b32 exec_lo, exec_lo, s6
	s_cbranch_execnz .LBB70_7
.LBB70_8:
	s_endpgm
	.section	.rodata,"a",@progbits
	.p2align	6, 0x0
	.amdhsa_kernel _ZN12_GLOBAL__N_141elementwise_kernel_with_index_grid_strideIiZZZN2at6native15arange_cuda_outERKN3c106ScalarES6_S6_RNS1_6TensorEENKUlvE_clEvENKUlvE3_clEvEUllE_EEvT_T0_PN15function_traitsISD_E11result_typeE
		.amdhsa_group_segment_fixed_size 0
		.amdhsa_private_segment_fixed_size 0
		.amdhsa_kernarg_size 288
		.amdhsa_user_sgpr_count 6
		.amdhsa_user_sgpr_private_segment_buffer 1
		.amdhsa_user_sgpr_dispatch_ptr 0
		.amdhsa_user_sgpr_queue_ptr 0
		.amdhsa_user_sgpr_kernarg_segment_ptr 1
		.amdhsa_user_sgpr_dispatch_id 0
		.amdhsa_user_sgpr_flat_scratch_init 0
		.amdhsa_user_sgpr_private_segment_size 0
		.amdhsa_wavefront_size32 1
		.amdhsa_uses_dynamic_stack 0
		.amdhsa_system_sgpr_private_segment_wavefront_offset 0
		.amdhsa_system_sgpr_workgroup_id_x 1
		.amdhsa_system_sgpr_workgroup_id_y 0
		.amdhsa_system_sgpr_workgroup_id_z 0
		.amdhsa_system_sgpr_workgroup_info 0
		.amdhsa_system_vgpr_workitem_id 0
		.amdhsa_next_free_vgpr 13
		.amdhsa_next_free_sgpr 17
		.amdhsa_reserve_vcc 1
		.amdhsa_reserve_flat_scratch 0
		.amdhsa_float_round_mode_32 0
		.amdhsa_float_round_mode_16_64 0
		.amdhsa_float_denorm_mode_32 3
		.amdhsa_float_denorm_mode_16_64 3
		.amdhsa_dx10_clamp 1
		.amdhsa_ieee_mode 1
		.amdhsa_fp16_overflow 0
		.amdhsa_workgroup_processor_mode 1
		.amdhsa_memory_ordered 1
		.amdhsa_forward_progress 1
		.amdhsa_shared_vgpr_count 0
		.amdhsa_exception_fp_ieee_invalid_op 0
		.amdhsa_exception_fp_denorm_src 0
		.amdhsa_exception_fp_ieee_div_zero 0
		.amdhsa_exception_fp_ieee_overflow 0
		.amdhsa_exception_fp_ieee_underflow 0
		.amdhsa_exception_fp_ieee_inexact 0
		.amdhsa_exception_int_div_zero 0
	.end_amdhsa_kernel
	.section	.text._ZN12_GLOBAL__N_141elementwise_kernel_with_index_grid_strideIiZZZN2at6native15arange_cuda_outERKN3c106ScalarES6_S6_RNS1_6TensorEENKUlvE_clEvENKUlvE3_clEvEUllE_EEvT_T0_PN15function_traitsISD_E11result_typeE,"axG",@progbits,_ZN12_GLOBAL__N_141elementwise_kernel_with_index_grid_strideIiZZZN2at6native15arange_cuda_outERKN3c106ScalarES6_S6_RNS1_6TensorEENKUlvE_clEvENKUlvE3_clEvEUllE_EEvT_T0_PN15function_traitsISD_E11result_typeE,comdat
.Lfunc_end70:
	.size	_ZN12_GLOBAL__N_141elementwise_kernel_with_index_grid_strideIiZZZN2at6native15arange_cuda_outERKN3c106ScalarES6_S6_RNS1_6TensorEENKUlvE_clEvENKUlvE3_clEvEUllE_EEvT_T0_PN15function_traitsISD_E11result_typeE, .Lfunc_end70-_ZN12_GLOBAL__N_141elementwise_kernel_with_index_grid_strideIiZZZN2at6native15arange_cuda_outERKN3c106ScalarES6_S6_RNS1_6TensorEENKUlvE_clEvENKUlvE3_clEvEUllE_EEvT_T0_PN15function_traitsISD_E11result_typeE
                                        ; -- End function
	.set _ZN12_GLOBAL__N_141elementwise_kernel_with_index_grid_strideIiZZZN2at6native15arange_cuda_outERKN3c106ScalarES6_S6_RNS1_6TensorEENKUlvE_clEvENKUlvE3_clEvEUllE_EEvT_T0_PN15function_traitsISD_E11result_typeE.num_vgpr, 13
	.set _ZN12_GLOBAL__N_141elementwise_kernel_with_index_grid_strideIiZZZN2at6native15arange_cuda_outERKN3c106ScalarES6_S6_RNS1_6TensorEENKUlvE_clEvENKUlvE3_clEvEUllE_EEvT_T0_PN15function_traitsISD_E11result_typeE.num_agpr, 0
	.set _ZN12_GLOBAL__N_141elementwise_kernel_with_index_grid_strideIiZZZN2at6native15arange_cuda_outERKN3c106ScalarES6_S6_RNS1_6TensorEENKUlvE_clEvENKUlvE3_clEvEUllE_EEvT_T0_PN15function_traitsISD_E11result_typeE.numbered_sgpr, 17
	.set _ZN12_GLOBAL__N_141elementwise_kernel_with_index_grid_strideIiZZZN2at6native15arange_cuda_outERKN3c106ScalarES6_S6_RNS1_6TensorEENKUlvE_clEvENKUlvE3_clEvEUllE_EEvT_T0_PN15function_traitsISD_E11result_typeE.num_named_barrier, 0
	.set _ZN12_GLOBAL__N_141elementwise_kernel_with_index_grid_strideIiZZZN2at6native15arange_cuda_outERKN3c106ScalarES6_S6_RNS1_6TensorEENKUlvE_clEvENKUlvE3_clEvEUllE_EEvT_T0_PN15function_traitsISD_E11result_typeE.private_seg_size, 0
	.set _ZN12_GLOBAL__N_141elementwise_kernel_with_index_grid_strideIiZZZN2at6native15arange_cuda_outERKN3c106ScalarES6_S6_RNS1_6TensorEENKUlvE_clEvENKUlvE3_clEvEUllE_EEvT_T0_PN15function_traitsISD_E11result_typeE.uses_vcc, 1
	.set _ZN12_GLOBAL__N_141elementwise_kernel_with_index_grid_strideIiZZZN2at6native15arange_cuda_outERKN3c106ScalarES6_S6_RNS1_6TensorEENKUlvE_clEvENKUlvE3_clEvEUllE_EEvT_T0_PN15function_traitsISD_E11result_typeE.uses_flat_scratch, 0
	.set _ZN12_GLOBAL__N_141elementwise_kernel_with_index_grid_strideIiZZZN2at6native15arange_cuda_outERKN3c106ScalarES6_S6_RNS1_6TensorEENKUlvE_clEvENKUlvE3_clEvEUllE_EEvT_T0_PN15function_traitsISD_E11result_typeE.has_dyn_sized_stack, 0
	.set _ZN12_GLOBAL__N_141elementwise_kernel_with_index_grid_strideIiZZZN2at6native15arange_cuda_outERKN3c106ScalarES6_S6_RNS1_6TensorEENKUlvE_clEvENKUlvE3_clEvEUllE_EEvT_T0_PN15function_traitsISD_E11result_typeE.has_recursion, 0
	.set _ZN12_GLOBAL__N_141elementwise_kernel_with_index_grid_strideIiZZZN2at6native15arange_cuda_outERKN3c106ScalarES6_S6_RNS1_6TensorEENKUlvE_clEvENKUlvE3_clEvEUllE_EEvT_T0_PN15function_traitsISD_E11result_typeE.has_indirect_call, 0
	.section	.AMDGPU.csdata,"",@progbits
; Kernel info:
; codeLenInByte = 636
; TotalNumSgprs: 19
; NumVgprs: 13
; ScratchSize: 0
; MemoryBound: 0
; FloatMode: 240
; IeeeMode: 1
; LDSByteSize: 0 bytes/workgroup (compile time only)
; SGPRBlocks: 0
; VGPRBlocks: 1
; NumSGPRsForWavesPerEU: 19
; NumVGPRsForWavesPerEU: 13
; Occupancy: 16
; WaveLimiterHint : 0
; COMPUTE_PGM_RSRC2:SCRATCH_EN: 0
; COMPUTE_PGM_RSRC2:USER_SGPR: 6
; COMPUTE_PGM_RSRC2:TRAP_HANDLER: 0
; COMPUTE_PGM_RSRC2:TGID_X_EN: 1
; COMPUTE_PGM_RSRC2:TGID_Y_EN: 0
; COMPUTE_PGM_RSRC2:TGID_Z_EN: 0
; COMPUTE_PGM_RSRC2:TIDIG_COMP_CNT: 0
	.section	.text._ZN12_GLOBAL__N_141elementwise_kernel_with_index_grid_strideIlZZZN2at6native15arange_cuda_outERKN3c106ScalarES6_S6_RNS1_6TensorEENKUlvE_clEvENKUlvE3_clEvEUllE_EEvT_T0_PN15function_traitsISD_E11result_typeE,"axG",@progbits,_ZN12_GLOBAL__N_141elementwise_kernel_with_index_grid_strideIlZZZN2at6native15arange_cuda_outERKN3c106ScalarES6_S6_RNS1_6TensorEENKUlvE_clEvENKUlvE3_clEvEUllE_EEvT_T0_PN15function_traitsISD_E11result_typeE,comdat
	.globl	_ZN12_GLOBAL__N_141elementwise_kernel_with_index_grid_strideIlZZZN2at6native15arange_cuda_outERKN3c106ScalarES6_S6_RNS1_6TensorEENKUlvE_clEvENKUlvE3_clEvEUllE_EEvT_T0_PN15function_traitsISD_E11result_typeE ; -- Begin function _ZN12_GLOBAL__N_141elementwise_kernel_with_index_grid_strideIlZZZN2at6native15arange_cuda_outERKN3c106ScalarES6_S6_RNS1_6TensorEENKUlvE_clEvENKUlvE3_clEvEUllE_EEvT_T0_PN15function_traitsISD_E11result_typeE
	.p2align	8
	.type	_ZN12_GLOBAL__N_141elementwise_kernel_with_index_grid_strideIlZZZN2at6native15arange_cuda_outERKN3c106ScalarES6_S6_RNS1_6TensorEENKUlvE_clEvENKUlvE3_clEvEUllE_EEvT_T0_PN15function_traitsISD_E11result_typeE,@function
_ZN12_GLOBAL__N_141elementwise_kernel_with_index_grid_strideIlZZZN2at6native15arange_cuda_outERKN3c106ScalarES6_S6_RNS1_6TensorEENKUlvE_clEvENKUlvE3_clEvEUllE_EEvT_T0_PN15function_traitsISD_E11result_typeE: ; @_ZN12_GLOBAL__N_141elementwise_kernel_with_index_grid_strideIlZZZN2at6native15arange_cuda_outERKN3c106ScalarES6_S6_RNS1_6TensorEENKUlvE_clEvENKUlvE3_clEvEUllE_EEvT_T0_PN15function_traitsISD_E11result_typeE
; %bb.0:
	s_clause 0x1
	s_load_dword s2, s[4:5], 0x2c
	s_load_dwordx8 s[8:15], s[4:5], 0x0
	v_mov_b32_e32 v1, 0
	s_add_u32 s0, s4, 32
	s_addc_u32 s1, s5, 0
	s_waitcnt lgkmcnt(0)
	s_and_b32 s7, s2, 0xffff
	s_mov_b32 s2, exec_lo
	v_mad_u64_u32 v[2:3], null, s7, s6, v[0:1]
	v_cmpx_gt_i64_e64 s[8:9], v[2:3]
	s_cbranch_execz .LBB71_14
; %bb.1:
	s_load_dword s1, s[0:1], 0x0
	s_waitcnt lgkmcnt(0)
	s_add_u32 s0, s6, s1
	s_mul_hi_u32 s3, s7, s1
	v_mad_u64_u32 v[5:6], null, s0, s7, v[0:1]
	s_addc_u32 s0, 0, 0
	s_mul_i32 s2, s7, s1
	v_mov_b32_e32 v0, v6
	v_mad_u64_u32 v[7:8], null, s0, s7, v[0:1]
	s_mov_b32 s0, exec_lo
	v_mov_b32_e32 v6, v7
	v_cmp_gt_i64_e32 vcc_lo, s[8:9], v[5:6]
	v_cndmask_b32_e64 v4, 0, 1, vcc_lo
	v_cndmask_b32_e64 v0, v7, s9, vcc_lo
	;; [unrolled: 1-line block ×3, first 2 shown]
	v_add_co_u32 v5, vcc_lo, v5, v4
	v_add_co_ci_u32_e64 v7, null, 0, v7, vcc_lo
	v_sub_co_u32 v5, vcc_lo, v6, v5
	v_sub_co_ci_u32_e64 v6, null, v0, v7, vcc_lo
	v_mov_b32_e32 v7, v1
                                        ; implicit-def: $vgpr0_vgpr1
	v_or_b32_e32 v8, s3, v6
	v_cmpx_ne_u64_e32 0, v[7:8]
	s_xor_b32 s4, exec_lo, s0
	s_cbranch_execz .LBB71_3
; %bb.2:
	v_cvt_f32_u32_e32 v0, s2
	v_cvt_f32_u32_e32 v1, s3
	s_sub_u32 s6, 0, s2
	s_subb_u32 s16, 0, s3
	v_fmamk_f32 v0, v1, 0x4f800000, v0
	v_rcp_f32_e32 v0, v0
	v_mul_f32_e32 v0, 0x5f7ffffc, v0
	v_mul_f32_e32 v1, 0x2f800000, v0
	v_trunc_f32_e32 v1, v1
	v_fmamk_f32 v0, v1, 0xcf800000, v0
	v_cvt_u32_f32_e32 v1, v1
	v_cvt_u32_f32_e32 v0, v0
	v_readfirstlane_b32 s0, v1
	v_readfirstlane_b32 s5, v0
	s_mul_i32 s17, s6, s0
	s_mul_hi_u32 s19, s6, s5
	s_mul_i32 s18, s16, s5
	s_add_i32 s17, s19, s17
	s_mul_i32 s20, s6, s5
	s_add_i32 s17, s17, s18
	s_mul_hi_u32 s19, s5, s20
	s_mul_i32 s22, s5, s17
	s_mul_hi_u32 s21, s0, s20
	s_mul_i32 s18, s0, s20
	s_mul_hi_u32 s20, s5, s17
	s_add_u32 s19, s19, s22
	s_addc_u32 s20, 0, s20
	s_mul_hi_u32 s23, s0, s17
	s_add_u32 s18, s19, s18
	s_mul_i32 s17, s0, s17
	s_addc_u32 s18, s20, s21
	s_addc_u32 s19, s23, 0
	s_add_u32 s17, s18, s17
	s_addc_u32 s18, 0, s19
	s_add_u32 s5, s5, s17
	s_cselect_b32 s17, -1, 0
	s_mul_hi_u32 s19, s6, s5
	s_cmp_lg_u32 s17, 0
	s_mul_i32 s17, s6, s5
	s_addc_u32 s0, s0, s18
	s_mul_i32 s16, s16, s5
	s_mul_i32 s6, s6, s0
	s_mul_hi_u32 s18, s5, s17
	s_add_i32 s6, s19, s6
	s_mul_hi_u32 s19, s0, s17
	s_add_i32 s6, s6, s16
	s_mul_i32 s16, s0, s17
	s_mul_i32 s21, s5, s6
	s_mul_hi_u32 s20, s5, s6
	s_add_u32 s18, s18, s21
	s_addc_u32 s20, 0, s20
	s_mul_hi_u32 s17, s0, s6
	s_add_u32 s16, s18, s16
	s_mul_i32 s6, s0, s6
	s_addc_u32 s16, s20, s19
	s_addc_u32 s17, s17, 0
	s_add_u32 s6, s16, s6
	s_addc_u32 s16, 0, s17
	s_add_u32 s5, s5, s6
	s_cselect_b32 s6, -1, 0
	v_mul_hi_u32 v11, v5, s5
	s_cmp_lg_u32 s6, 0
	v_mad_u64_u32 v[7:8], null, v6, s5, 0
	s_addc_u32 s0, s0, s16
	v_mad_u64_u32 v[0:1], null, v5, s0, 0
	v_mad_u64_u32 v[9:10], null, v6, s0, 0
	v_add_co_u32 v0, vcc_lo, v11, v0
	v_add_co_ci_u32_e64 v1, null, 0, v1, vcc_lo
	v_add_co_u32 v0, vcc_lo, v0, v7
	v_add_co_ci_u32_e32 v0, vcc_lo, v1, v8, vcc_lo
	v_add_co_ci_u32_e32 v1, vcc_lo, 0, v10, vcc_lo
	v_add_co_u32 v7, vcc_lo, v0, v9
	v_add_co_ci_u32_e64 v8, null, 0, v1, vcc_lo
	v_mul_lo_u32 v9, s3, v7
	v_mad_u64_u32 v[0:1], null, s2, v7, 0
	v_mul_lo_u32 v10, s2, v8
	v_sub_co_u32 v0, vcc_lo, v5, v0
	v_add3_u32 v1, v1, v10, v9
	v_sub_nc_u32_e32 v9, v6, v1
	v_sub_co_ci_u32_e64 v1, null, v6, v1, vcc_lo
	v_subrev_co_ci_u32_e64 v5, null, s3, v9, vcc_lo
	v_add_co_u32 v9, s0, v7, 2
	v_add_co_ci_u32_e64 v10, null, 0, v8, s0
	v_sub_co_u32 v11, s0, v0, s2
	v_subrev_co_ci_u32_e64 v5, null, 0, v5, s0
	v_cmp_eq_u32_e64 s0, s3, v1
	v_cmp_le_u32_e32 vcc_lo, s2, v11
	v_cndmask_b32_e64 v6, 0, -1, vcc_lo
	v_cmp_le_u32_e32 vcc_lo, s3, v5
	v_cndmask_b32_e64 v11, 0, -1, vcc_lo
	;; [unrolled: 2-line block ×4, first 2 shown]
	v_cmp_eq_u32_e32 vcc_lo, s3, v5
	v_cndmask_b32_e64 v0, v12, v0, s0
	v_cndmask_b32_e32 v5, v11, v6, vcc_lo
	v_add_co_u32 v6, vcc_lo, v7, 1
	v_add_co_ci_u32_e64 v11, null, 0, v8, vcc_lo
	v_cmp_ne_u32_e32 vcc_lo, 0, v5
	v_cndmask_b32_e32 v1, v11, v10, vcc_lo
	v_cndmask_b32_e32 v5, v6, v9, vcc_lo
	v_cmp_ne_u32_e32 vcc_lo, 0, v0
	v_cndmask_b32_e32 v1, v8, v1, vcc_lo
	v_cndmask_b32_e32 v0, v7, v5, vcc_lo
                                        ; implicit-def: $vgpr5
.LBB71_3:
	s_andn2_saveexec_b32 s0, s4
	s_cbranch_execz .LBB71_5
; %bb.4:
	v_cvt_f32_u32_e32 v0, s2
	s_sub_i32 s4, 0, s2
	v_rcp_iflag_f32_e32 v0, v0
	v_mul_f32_e32 v0, 0x4f7ffffe, v0
	v_cvt_u32_f32_e32 v0, v0
	v_mul_lo_u32 v1, s4, v0
	v_mul_hi_u32 v1, v0, v1
	v_add_nc_u32_e32 v0, v0, v1
	v_mul_hi_u32 v0, v5, v0
	v_mul_lo_u32 v1, v0, s2
	v_sub_nc_u32_e32 v1, v5, v1
	v_add_nc_u32_e32 v5, 1, v0
	v_subrev_nc_u32_e32 v6, s2, v1
	v_cmp_le_u32_e32 vcc_lo, s2, v1
	v_cndmask_b32_e32 v1, v1, v6, vcc_lo
	v_cndmask_b32_e32 v0, v0, v5, vcc_lo
	v_cmp_le_u32_e32 vcc_lo, s2, v1
	v_add_nc_u32_e32 v5, 1, v0
	v_mov_b32_e32 v1, 0
	v_cndmask_b32_e32 v0, v0, v5, vcc_lo
.LBB71_5:
	s_or_b32 exec_lo, exec_lo, s0
	v_add_co_u32 v0, vcc_lo, v0, v4
	v_add_co_ci_u32_e64 v1, null, 0, v1, vcc_lo
	s_mov_b32 s0, 0
	v_add_co_u32 v0, vcc_lo, v0, 1
	v_add_co_ci_u32_e64 v1, null, 0, v1, vcc_lo
                                        ; implicit-def: $vgpr4_vgpr5
	s_mov_b32 s4, exec_lo
	v_cmpx_lt_u64_e32 1, v[0:1]
	s_xor_b32 s17, exec_lo, s4
	s_cbranch_execnz .LBB71_8
; %bb.6:
	s_andn2_saveexec_b32 s4, s17
	s_cbranch_execnz .LBB71_11
.LBB71_7:
	s_or_b32 exec_lo, exec_lo, s4
	s_and_b32 exec_lo, exec_lo, s0
	s_cbranch_execnz .LBB71_12
	s_branch .LBB71_14
.LBB71_8:
	v_lshlrev_b64 v[6:7], 1, v[2:3]
	v_add_co_u32 v4, vcc_lo, v2, s2
	v_mov_b32_e32 v9, v1
	v_add_co_ci_u32_e64 v5, null, s3, v3, vcc_lo
	v_and_b32_e32 v8, -2, v0
	v_add_co_u32 v10, vcc_lo, s14, v6
	v_add_co_ci_u32_e64 v11, null, s15, v7, vcc_lo
	v_mov_b32_e32 v13, v9
	v_mov_b32_e32 v7, v5
	v_mov_b32_e32 v12, v8
	v_mov_b32_e32 v6, v4
	v_mov_b32_e32 v5, v3
	v_mov_b32_e32 v4, v2
	s_lshl_b64 s[4:5], s[2:3], 1
	s_mov_b32 s20, s12
	s_mov_b32 s21, s12
	;; [unrolled: 1-line block ×6, first 2 shown]
	s_lshl_b64 s[18:19], s[2:3], 2
	s_mov_b32 s24, 0
	.p2align	6
.LBB71_9:                               ; =>This Inner Loop Header: Depth=1
	v_mad_u64_u32 v[14:15], null, v6, s21, s[16:17]
	v_mad_u64_u32 v[15:16], null, v4, s20, s[6:7]
	v_add_co_u32 v16, vcc_lo, v10, s4
	v_add_co_ci_u32_e64 v17, null, s5, v11, vcc_lo
	v_add_co_u32 v6, vcc_lo, v6, s22
	v_add_co_ci_u32_e64 v7, null, s23, v7, vcc_lo
	v_add_co_u32 v12, vcc_lo, v12, -2
	v_add_co_ci_u32_e64 v13, null, -1, v13, vcc_lo
	v_add_co_u32 v4, vcc_lo, v4, s4
	v_add_co_ci_u32_e64 v5, null, s5, v5, vcc_lo
	v_cmp_eq_u64_e32 vcc_lo, 0, v[12:13]
	global_store_short v[10:11], v15, off
	v_add_co_u32 v10, s0, v10, s18
	v_add_co_ci_u32_e64 v11, null, s19, v11, s0
	s_or_b32 s24, vcc_lo, s24
	global_store_short v[16:17], v14, off
	s_andn2_b32 exec_lo, exec_lo, s24
	s_cbranch_execnz .LBB71_9
; %bb.10:
	s_or_b32 exec_lo, exec_lo, s24
	v_mad_u64_u32 v[2:3], null, v8, s2, v[2:3]
	v_mul_lo_u32 v4, v8, s3
	v_mul_lo_u32 v5, v9, s2
	v_cmp_ne_u64_e32 vcc_lo, v[0:1], v[8:9]
	s_and_b32 s0, vcc_lo, exec_lo
	v_add3_u32 v3, v5, v3, v4
	v_mov_b32_e32 v4, s4
	v_mov_b32_e32 v5, s5
	s_andn2_saveexec_b32 s4, s17
	s_cbranch_execz .LBB71_7
.LBB71_11:
	s_lshl_b64 s[16:17], s[2:3], 1
	s_or_b32 s0, s0, exec_lo
	v_mov_b32_e32 v4, s16
	v_mov_b32_e32 v5, s17
	s_or_b32 exec_lo, exec_lo, s4
	s_and_b32 exec_lo, exec_lo, s0
	s_cbranch_execz .LBB71_14
.LBB71_12:
	v_mad_u64_u32 v[0:1], null, v2, s12, s[10:11]
	v_mul_lo_u32 v8, v2, s13
	v_mul_lo_u32 v9, v3, s12
	v_lshlrev_b64 v[6:7], 1, v[2:3]
	s_mul_i32 s0, s13, s7
	s_mul_hi_u32 s4, s12, s7
	s_mul_i32 s5, s12, s7
	s_add_i32 s0, s4, s0
	s_mul_hi_u32 s4, s5, s1
	v_add_co_u32 v6, vcc_lo, s14, v6
	v_add3_u32 v1, v9, v1, v8
	v_add_co_ci_u32_e64 v7, null, s15, v7, vcc_lo
	s_mul_i32 s0, s0, s1
	s_mul_i32 s1, s5, s1
	s_add_i32 s4, s4, s0
	s_mov_b32 s5, 0
	.p2align	6
.LBB71_13:                              ; =>This Inner Loop Header: Depth=1
	v_add_co_u32 v2, vcc_lo, v2, s2
	v_add_co_ci_u32_e64 v3, null, s3, v3, vcc_lo
	global_store_short v[6:7], v0, off
	v_add_co_u32 v0, vcc_lo, v0, s1
	v_add_co_ci_u32_e64 v1, null, s4, v1, vcc_lo
	v_cmp_le_i64_e32 vcc_lo, s[8:9], v[2:3]
	v_add_co_u32 v6, s0, v6, v4
	v_add_co_ci_u32_e64 v7, null, v7, v5, s0
	s_or_b32 s5, vcc_lo, s5
	s_andn2_b32 exec_lo, exec_lo, s5
	s_cbranch_execnz .LBB71_13
.LBB71_14:
	s_endpgm
	.section	.rodata,"a",@progbits
	.p2align	6, 0x0
	.amdhsa_kernel _ZN12_GLOBAL__N_141elementwise_kernel_with_index_grid_strideIlZZZN2at6native15arange_cuda_outERKN3c106ScalarES6_S6_RNS1_6TensorEENKUlvE_clEvENKUlvE3_clEvEUllE_EEvT_T0_PN15function_traitsISD_E11result_typeE
		.amdhsa_group_segment_fixed_size 0
		.amdhsa_private_segment_fixed_size 0
		.amdhsa_kernarg_size 288
		.amdhsa_user_sgpr_count 6
		.amdhsa_user_sgpr_private_segment_buffer 1
		.amdhsa_user_sgpr_dispatch_ptr 0
		.amdhsa_user_sgpr_queue_ptr 0
		.amdhsa_user_sgpr_kernarg_segment_ptr 1
		.amdhsa_user_sgpr_dispatch_id 0
		.amdhsa_user_sgpr_flat_scratch_init 0
		.amdhsa_user_sgpr_private_segment_size 0
		.amdhsa_wavefront_size32 1
		.amdhsa_uses_dynamic_stack 0
		.amdhsa_system_sgpr_private_segment_wavefront_offset 0
		.amdhsa_system_sgpr_workgroup_id_x 1
		.amdhsa_system_sgpr_workgroup_id_y 0
		.amdhsa_system_sgpr_workgroup_id_z 0
		.amdhsa_system_sgpr_workgroup_info 0
		.amdhsa_system_vgpr_workitem_id 0
		.amdhsa_next_free_vgpr 18
		.amdhsa_next_free_sgpr 25
		.amdhsa_reserve_vcc 1
		.amdhsa_reserve_flat_scratch 0
		.amdhsa_float_round_mode_32 0
		.amdhsa_float_round_mode_16_64 0
		.amdhsa_float_denorm_mode_32 3
		.amdhsa_float_denorm_mode_16_64 3
		.amdhsa_dx10_clamp 1
		.amdhsa_ieee_mode 1
		.amdhsa_fp16_overflow 0
		.amdhsa_workgroup_processor_mode 1
		.amdhsa_memory_ordered 1
		.amdhsa_forward_progress 1
		.amdhsa_shared_vgpr_count 0
		.amdhsa_exception_fp_ieee_invalid_op 0
		.amdhsa_exception_fp_denorm_src 0
		.amdhsa_exception_fp_ieee_div_zero 0
		.amdhsa_exception_fp_ieee_overflow 0
		.amdhsa_exception_fp_ieee_underflow 0
		.amdhsa_exception_fp_ieee_inexact 0
		.amdhsa_exception_int_div_zero 0
	.end_amdhsa_kernel
	.section	.text._ZN12_GLOBAL__N_141elementwise_kernel_with_index_grid_strideIlZZZN2at6native15arange_cuda_outERKN3c106ScalarES6_S6_RNS1_6TensorEENKUlvE_clEvENKUlvE3_clEvEUllE_EEvT_T0_PN15function_traitsISD_E11result_typeE,"axG",@progbits,_ZN12_GLOBAL__N_141elementwise_kernel_with_index_grid_strideIlZZZN2at6native15arange_cuda_outERKN3c106ScalarES6_S6_RNS1_6TensorEENKUlvE_clEvENKUlvE3_clEvEUllE_EEvT_T0_PN15function_traitsISD_E11result_typeE,comdat
.Lfunc_end71:
	.size	_ZN12_GLOBAL__N_141elementwise_kernel_with_index_grid_strideIlZZZN2at6native15arange_cuda_outERKN3c106ScalarES6_S6_RNS1_6TensorEENKUlvE_clEvENKUlvE3_clEvEUllE_EEvT_T0_PN15function_traitsISD_E11result_typeE, .Lfunc_end71-_ZN12_GLOBAL__N_141elementwise_kernel_with_index_grid_strideIlZZZN2at6native15arange_cuda_outERKN3c106ScalarES6_S6_RNS1_6TensorEENKUlvE_clEvENKUlvE3_clEvEUllE_EEvT_T0_PN15function_traitsISD_E11result_typeE
                                        ; -- End function
	.set _ZN12_GLOBAL__N_141elementwise_kernel_with_index_grid_strideIlZZZN2at6native15arange_cuda_outERKN3c106ScalarES6_S6_RNS1_6TensorEENKUlvE_clEvENKUlvE3_clEvEUllE_EEvT_T0_PN15function_traitsISD_E11result_typeE.num_vgpr, 18
	.set _ZN12_GLOBAL__N_141elementwise_kernel_with_index_grid_strideIlZZZN2at6native15arange_cuda_outERKN3c106ScalarES6_S6_RNS1_6TensorEENKUlvE_clEvENKUlvE3_clEvEUllE_EEvT_T0_PN15function_traitsISD_E11result_typeE.num_agpr, 0
	.set _ZN12_GLOBAL__N_141elementwise_kernel_with_index_grid_strideIlZZZN2at6native15arange_cuda_outERKN3c106ScalarES6_S6_RNS1_6TensorEENKUlvE_clEvENKUlvE3_clEvEUllE_EEvT_T0_PN15function_traitsISD_E11result_typeE.numbered_sgpr, 25
	.set _ZN12_GLOBAL__N_141elementwise_kernel_with_index_grid_strideIlZZZN2at6native15arange_cuda_outERKN3c106ScalarES6_S6_RNS1_6TensorEENKUlvE_clEvENKUlvE3_clEvEUllE_EEvT_T0_PN15function_traitsISD_E11result_typeE.num_named_barrier, 0
	.set _ZN12_GLOBAL__N_141elementwise_kernel_with_index_grid_strideIlZZZN2at6native15arange_cuda_outERKN3c106ScalarES6_S6_RNS1_6TensorEENKUlvE_clEvENKUlvE3_clEvEUllE_EEvT_T0_PN15function_traitsISD_E11result_typeE.private_seg_size, 0
	.set _ZN12_GLOBAL__N_141elementwise_kernel_with_index_grid_strideIlZZZN2at6native15arange_cuda_outERKN3c106ScalarES6_S6_RNS1_6TensorEENKUlvE_clEvENKUlvE3_clEvEUllE_EEvT_T0_PN15function_traitsISD_E11result_typeE.uses_vcc, 1
	.set _ZN12_GLOBAL__N_141elementwise_kernel_with_index_grid_strideIlZZZN2at6native15arange_cuda_outERKN3c106ScalarES6_S6_RNS1_6TensorEENKUlvE_clEvENKUlvE3_clEvEUllE_EEvT_T0_PN15function_traitsISD_E11result_typeE.uses_flat_scratch, 0
	.set _ZN12_GLOBAL__N_141elementwise_kernel_with_index_grid_strideIlZZZN2at6native15arange_cuda_outERKN3c106ScalarES6_S6_RNS1_6TensorEENKUlvE_clEvENKUlvE3_clEvEUllE_EEvT_T0_PN15function_traitsISD_E11result_typeE.has_dyn_sized_stack, 0
	.set _ZN12_GLOBAL__N_141elementwise_kernel_with_index_grid_strideIlZZZN2at6native15arange_cuda_outERKN3c106ScalarES6_S6_RNS1_6TensorEENKUlvE_clEvENKUlvE3_clEvEUllE_EEvT_T0_PN15function_traitsISD_E11result_typeE.has_recursion, 0
	.set _ZN12_GLOBAL__N_141elementwise_kernel_with_index_grid_strideIlZZZN2at6native15arange_cuda_outERKN3c106ScalarES6_S6_RNS1_6TensorEENKUlvE_clEvENKUlvE3_clEvEUllE_EEvT_T0_PN15function_traitsISD_E11result_typeE.has_indirect_call, 0
	.section	.AMDGPU.csdata,"",@progbits
; Kernel info:
; codeLenInByte = 1484
; TotalNumSgprs: 27
; NumVgprs: 18
; ScratchSize: 0
; MemoryBound: 0
; FloatMode: 240
; IeeeMode: 1
; LDSByteSize: 0 bytes/workgroup (compile time only)
; SGPRBlocks: 0
; VGPRBlocks: 2
; NumSGPRsForWavesPerEU: 27
; NumVGPRsForWavesPerEU: 18
; Occupancy: 16
; WaveLimiterHint : 0
; COMPUTE_PGM_RSRC2:SCRATCH_EN: 0
; COMPUTE_PGM_RSRC2:USER_SGPR: 6
; COMPUTE_PGM_RSRC2:TRAP_HANDLER: 0
; COMPUTE_PGM_RSRC2:TGID_X_EN: 1
; COMPUTE_PGM_RSRC2:TGID_Y_EN: 0
; COMPUTE_PGM_RSRC2:TGID_Z_EN: 0
; COMPUTE_PGM_RSRC2:TIDIG_COMP_CNT: 0
	.section	.text._ZN12_GLOBAL__N_141elementwise_kernel_with_index_grid_strideIiZZZN2at6native15arange_cuda_outERKN3c106ScalarES6_S6_RNS1_6TensorEENKUlvE_clEvENKUlvE4_clEvEUllE_EEvT_T0_PN15function_traitsISD_E11result_typeE,"axG",@progbits,_ZN12_GLOBAL__N_141elementwise_kernel_with_index_grid_strideIiZZZN2at6native15arange_cuda_outERKN3c106ScalarES6_S6_RNS1_6TensorEENKUlvE_clEvENKUlvE4_clEvEUllE_EEvT_T0_PN15function_traitsISD_E11result_typeE,comdat
	.globl	_ZN12_GLOBAL__N_141elementwise_kernel_with_index_grid_strideIiZZZN2at6native15arange_cuda_outERKN3c106ScalarES6_S6_RNS1_6TensorEENKUlvE_clEvENKUlvE4_clEvEUllE_EEvT_T0_PN15function_traitsISD_E11result_typeE ; -- Begin function _ZN12_GLOBAL__N_141elementwise_kernel_with_index_grid_strideIiZZZN2at6native15arange_cuda_outERKN3c106ScalarES6_S6_RNS1_6TensorEENKUlvE_clEvENKUlvE4_clEvEUllE_EEvT_T0_PN15function_traitsISD_E11result_typeE
	.p2align	8
	.type	_ZN12_GLOBAL__N_141elementwise_kernel_with_index_grid_strideIiZZZN2at6native15arange_cuda_outERKN3c106ScalarES6_S6_RNS1_6TensorEENKUlvE_clEvENKUlvE4_clEvEUllE_EEvT_T0_PN15function_traitsISD_E11result_typeE,@function
_ZN12_GLOBAL__N_141elementwise_kernel_with_index_grid_strideIiZZZN2at6native15arange_cuda_outERKN3c106ScalarES6_S6_RNS1_6TensorEENKUlvE_clEvENKUlvE4_clEvEUllE_EEvT_T0_PN15function_traitsISD_E11result_typeE: ; @_ZN12_GLOBAL__N_141elementwise_kernel_with_index_grid_strideIiZZZN2at6native15arange_cuda_outERKN3c106ScalarES6_S6_RNS1_6TensorEENKUlvE_clEvENKUlvE4_clEvEUllE_EEvT_T0_PN15function_traitsISD_E11result_typeE
; %bb.0:
	s_clause 0x1
	s_load_dword s2, s[4:5], 0x2c
	s_load_dword s10, s[4:5], 0x0
	s_add_u32 s0, s4, 32
	s_addc_u32 s1, s5, 0
	s_mov_b32 s3, exec_lo
	s_waitcnt lgkmcnt(0)
	s_and_b32 s2, s2, 0xffff
	v_mad_u64_u32 v[0:1], null, s6, s2, v[0:1]
	v_cmpx_gt_i32_e64 s10, v0
	s_cbranch_execz .LBB72_3
; %bb.1:
	s_load_dword s3, s[0:1], 0x0
	s_clause 0x1
	s_load_dwordx2 s[0:1], s[4:5], 0x18
	s_load_dwordx4 s[4:7], s[4:5], 0x8
	v_ashrrev_i32_e32 v1, 31, v0
	v_lshlrev_b64 v[1:2], 3, v[0:1]
	s_waitcnt lgkmcnt(0)
	s_mul_i32 s2, s3, s2
	v_add_co_u32 v1, vcc_lo, s0, v1
	v_add_co_ci_u32_e64 v2, null, s1, v2, vcc_lo
	s_ashr_i32 s3, s2, 31
	s_mov_b32 s1, 0
	s_lshl_b64 s[8:9], s[2:3], 3
.LBB72_2:                               ; =>This Inner Loop Header: Depth=1
	v_cvt_f64_i32_e32 v[3:4], v0
	v_add_nc_u32_e32 v0, s2, v0
	v_cmp_le_i32_e32 vcc_lo, s10, v0
	s_or_b32 s1, vcc_lo, s1
	v_fma_f64 v[3:4], s[6:7], v[3:4], s[4:5]
	global_store_dwordx2 v[1:2], v[3:4], off
	v_add_co_u32 v1, s0, v1, s8
	v_add_co_ci_u32_e64 v2, null, s9, v2, s0
	s_andn2_b32 exec_lo, exec_lo, s1
	s_cbranch_execnz .LBB72_2
.LBB72_3:
	s_endpgm
	.section	.rodata,"a",@progbits
	.p2align	6, 0x0
	.amdhsa_kernel _ZN12_GLOBAL__N_141elementwise_kernel_with_index_grid_strideIiZZZN2at6native15arange_cuda_outERKN3c106ScalarES6_S6_RNS1_6TensorEENKUlvE_clEvENKUlvE4_clEvEUllE_EEvT_T0_PN15function_traitsISD_E11result_typeE
		.amdhsa_group_segment_fixed_size 0
		.amdhsa_private_segment_fixed_size 0
		.amdhsa_kernarg_size 288
		.amdhsa_user_sgpr_count 6
		.amdhsa_user_sgpr_private_segment_buffer 1
		.amdhsa_user_sgpr_dispatch_ptr 0
		.amdhsa_user_sgpr_queue_ptr 0
		.amdhsa_user_sgpr_kernarg_segment_ptr 1
		.amdhsa_user_sgpr_dispatch_id 0
		.amdhsa_user_sgpr_flat_scratch_init 0
		.amdhsa_user_sgpr_private_segment_size 0
		.amdhsa_wavefront_size32 1
		.amdhsa_uses_dynamic_stack 0
		.amdhsa_system_sgpr_private_segment_wavefront_offset 0
		.amdhsa_system_sgpr_workgroup_id_x 1
		.amdhsa_system_sgpr_workgroup_id_y 0
		.amdhsa_system_sgpr_workgroup_id_z 0
		.amdhsa_system_sgpr_workgroup_info 0
		.amdhsa_system_vgpr_workitem_id 0
		.amdhsa_next_free_vgpr 5
		.amdhsa_next_free_sgpr 11
		.amdhsa_reserve_vcc 1
		.amdhsa_reserve_flat_scratch 0
		.amdhsa_float_round_mode_32 0
		.amdhsa_float_round_mode_16_64 0
		.amdhsa_float_denorm_mode_32 3
		.amdhsa_float_denorm_mode_16_64 3
		.amdhsa_dx10_clamp 1
		.amdhsa_ieee_mode 1
		.amdhsa_fp16_overflow 0
		.amdhsa_workgroup_processor_mode 1
		.amdhsa_memory_ordered 1
		.amdhsa_forward_progress 1
		.amdhsa_shared_vgpr_count 0
		.amdhsa_exception_fp_ieee_invalid_op 0
		.amdhsa_exception_fp_denorm_src 0
		.amdhsa_exception_fp_ieee_div_zero 0
		.amdhsa_exception_fp_ieee_overflow 0
		.amdhsa_exception_fp_ieee_underflow 0
		.amdhsa_exception_fp_ieee_inexact 0
		.amdhsa_exception_int_div_zero 0
	.end_amdhsa_kernel
	.section	.text._ZN12_GLOBAL__N_141elementwise_kernel_with_index_grid_strideIiZZZN2at6native15arange_cuda_outERKN3c106ScalarES6_S6_RNS1_6TensorEENKUlvE_clEvENKUlvE4_clEvEUllE_EEvT_T0_PN15function_traitsISD_E11result_typeE,"axG",@progbits,_ZN12_GLOBAL__N_141elementwise_kernel_with_index_grid_strideIiZZZN2at6native15arange_cuda_outERKN3c106ScalarES6_S6_RNS1_6TensorEENKUlvE_clEvENKUlvE4_clEvEUllE_EEvT_T0_PN15function_traitsISD_E11result_typeE,comdat
.Lfunc_end72:
	.size	_ZN12_GLOBAL__N_141elementwise_kernel_with_index_grid_strideIiZZZN2at6native15arange_cuda_outERKN3c106ScalarES6_S6_RNS1_6TensorEENKUlvE_clEvENKUlvE4_clEvEUllE_EEvT_T0_PN15function_traitsISD_E11result_typeE, .Lfunc_end72-_ZN12_GLOBAL__N_141elementwise_kernel_with_index_grid_strideIiZZZN2at6native15arange_cuda_outERKN3c106ScalarES6_S6_RNS1_6TensorEENKUlvE_clEvENKUlvE4_clEvEUllE_EEvT_T0_PN15function_traitsISD_E11result_typeE
                                        ; -- End function
	.set _ZN12_GLOBAL__N_141elementwise_kernel_with_index_grid_strideIiZZZN2at6native15arange_cuda_outERKN3c106ScalarES6_S6_RNS1_6TensorEENKUlvE_clEvENKUlvE4_clEvEUllE_EEvT_T0_PN15function_traitsISD_E11result_typeE.num_vgpr, 5
	.set _ZN12_GLOBAL__N_141elementwise_kernel_with_index_grid_strideIiZZZN2at6native15arange_cuda_outERKN3c106ScalarES6_S6_RNS1_6TensorEENKUlvE_clEvENKUlvE4_clEvEUllE_EEvT_T0_PN15function_traitsISD_E11result_typeE.num_agpr, 0
	.set _ZN12_GLOBAL__N_141elementwise_kernel_with_index_grid_strideIiZZZN2at6native15arange_cuda_outERKN3c106ScalarES6_S6_RNS1_6TensorEENKUlvE_clEvENKUlvE4_clEvEUllE_EEvT_T0_PN15function_traitsISD_E11result_typeE.numbered_sgpr, 11
	.set _ZN12_GLOBAL__N_141elementwise_kernel_with_index_grid_strideIiZZZN2at6native15arange_cuda_outERKN3c106ScalarES6_S6_RNS1_6TensorEENKUlvE_clEvENKUlvE4_clEvEUllE_EEvT_T0_PN15function_traitsISD_E11result_typeE.num_named_barrier, 0
	.set _ZN12_GLOBAL__N_141elementwise_kernel_with_index_grid_strideIiZZZN2at6native15arange_cuda_outERKN3c106ScalarES6_S6_RNS1_6TensorEENKUlvE_clEvENKUlvE4_clEvEUllE_EEvT_T0_PN15function_traitsISD_E11result_typeE.private_seg_size, 0
	.set _ZN12_GLOBAL__N_141elementwise_kernel_with_index_grid_strideIiZZZN2at6native15arange_cuda_outERKN3c106ScalarES6_S6_RNS1_6TensorEENKUlvE_clEvENKUlvE4_clEvEUllE_EEvT_T0_PN15function_traitsISD_E11result_typeE.uses_vcc, 1
	.set _ZN12_GLOBAL__N_141elementwise_kernel_with_index_grid_strideIiZZZN2at6native15arange_cuda_outERKN3c106ScalarES6_S6_RNS1_6TensorEENKUlvE_clEvENKUlvE4_clEvEUllE_EEvT_T0_PN15function_traitsISD_E11result_typeE.uses_flat_scratch, 0
	.set _ZN12_GLOBAL__N_141elementwise_kernel_with_index_grid_strideIiZZZN2at6native15arange_cuda_outERKN3c106ScalarES6_S6_RNS1_6TensorEENKUlvE_clEvENKUlvE4_clEvEUllE_EEvT_T0_PN15function_traitsISD_E11result_typeE.has_dyn_sized_stack, 0
	.set _ZN12_GLOBAL__N_141elementwise_kernel_with_index_grid_strideIiZZZN2at6native15arange_cuda_outERKN3c106ScalarES6_S6_RNS1_6TensorEENKUlvE_clEvENKUlvE4_clEvEUllE_EEvT_T0_PN15function_traitsISD_E11result_typeE.has_recursion, 0
	.set _ZN12_GLOBAL__N_141elementwise_kernel_with_index_grid_strideIiZZZN2at6native15arange_cuda_outERKN3c106ScalarES6_S6_RNS1_6TensorEENKUlvE_clEvENKUlvE4_clEvEUllE_EEvT_T0_PN15function_traitsISD_E11result_typeE.has_indirect_call, 0
	.section	.AMDGPU.csdata,"",@progbits
; Kernel info:
; codeLenInByte = 200
; TotalNumSgprs: 13
; NumVgprs: 5
; ScratchSize: 0
; MemoryBound: 0
; FloatMode: 240
; IeeeMode: 1
; LDSByteSize: 0 bytes/workgroup (compile time only)
; SGPRBlocks: 0
; VGPRBlocks: 0
; NumSGPRsForWavesPerEU: 13
; NumVGPRsForWavesPerEU: 5
; Occupancy: 16
; WaveLimiterHint : 0
; COMPUTE_PGM_RSRC2:SCRATCH_EN: 0
; COMPUTE_PGM_RSRC2:USER_SGPR: 6
; COMPUTE_PGM_RSRC2:TRAP_HANDLER: 0
; COMPUTE_PGM_RSRC2:TGID_X_EN: 1
; COMPUTE_PGM_RSRC2:TGID_Y_EN: 0
; COMPUTE_PGM_RSRC2:TGID_Z_EN: 0
; COMPUTE_PGM_RSRC2:TIDIG_COMP_CNT: 0
	.section	.text._ZN12_GLOBAL__N_141elementwise_kernel_with_index_grid_strideIlZZZN2at6native15arange_cuda_outERKN3c106ScalarES6_S6_RNS1_6TensorEENKUlvE_clEvENKUlvE4_clEvEUllE_EEvT_T0_PN15function_traitsISD_E11result_typeE,"axG",@progbits,_ZN12_GLOBAL__N_141elementwise_kernel_with_index_grid_strideIlZZZN2at6native15arange_cuda_outERKN3c106ScalarES6_S6_RNS1_6TensorEENKUlvE_clEvENKUlvE4_clEvEUllE_EEvT_T0_PN15function_traitsISD_E11result_typeE,comdat
	.globl	_ZN12_GLOBAL__N_141elementwise_kernel_with_index_grid_strideIlZZZN2at6native15arange_cuda_outERKN3c106ScalarES6_S6_RNS1_6TensorEENKUlvE_clEvENKUlvE4_clEvEUllE_EEvT_T0_PN15function_traitsISD_E11result_typeE ; -- Begin function _ZN12_GLOBAL__N_141elementwise_kernel_with_index_grid_strideIlZZZN2at6native15arange_cuda_outERKN3c106ScalarES6_S6_RNS1_6TensorEENKUlvE_clEvENKUlvE4_clEvEUllE_EEvT_T0_PN15function_traitsISD_E11result_typeE
	.p2align	8
	.type	_ZN12_GLOBAL__N_141elementwise_kernel_with_index_grid_strideIlZZZN2at6native15arange_cuda_outERKN3c106ScalarES6_S6_RNS1_6TensorEENKUlvE_clEvENKUlvE4_clEvEUllE_EEvT_T0_PN15function_traitsISD_E11result_typeE,@function
_ZN12_GLOBAL__N_141elementwise_kernel_with_index_grid_strideIlZZZN2at6native15arange_cuda_outERKN3c106ScalarES6_S6_RNS1_6TensorEENKUlvE_clEvENKUlvE4_clEvEUllE_EEvT_T0_PN15function_traitsISD_E11result_typeE: ; @_ZN12_GLOBAL__N_141elementwise_kernel_with_index_grid_strideIlZZZN2at6native15arange_cuda_outERKN3c106ScalarES6_S6_RNS1_6TensorEENKUlvE_clEvENKUlvE4_clEvEUllE_EEvT_T0_PN15function_traitsISD_E11result_typeE
; %bb.0:
	s_clause 0x1
	s_load_dword s2, s[4:5], 0x2c
	s_load_dwordx8 s[8:15], s[4:5], 0x0
	v_mov_b32_e32 v1, 0
	s_add_u32 s0, s4, 32
	s_addc_u32 s1, s5, 0
	s_mov_b32 s3, exec_lo
	s_waitcnt lgkmcnt(0)
	s_and_b32 s2, s2, 0xffff
	v_mad_u64_u32 v[0:1], null, s2, s6, v[0:1]
	v_cmpx_gt_i64_e64 s[8:9], v[0:1]
	s_cbranch_execz .LBB73_3
; %bb.1:
	s_load_dword s0, s[0:1], 0x0
	v_lshlrev_b64 v[2:3], 3, v[0:1]
	s_mov_b32 s1, 0
	v_add_co_u32 v2, vcc_lo, s14, v2
	v_add_co_ci_u32_e64 v3, null, s15, v3, vcc_lo
	s_waitcnt lgkmcnt(0)
	s_mul_hi_u32 s3, s2, s0
	s_mul_i32 s2, s2, s0
	s_lshl_b64 s[4:5], s[2:3], 3
	.p2align	6
.LBB73_2:                               ; =>This Inner Loop Header: Depth=1
	v_cvt_f64_u32_e32 v[4:5], v1
	v_cvt_f64_u32_e32 v[6:7], v0
	v_add_co_u32 v0, vcc_lo, v0, s2
	v_add_co_ci_u32_e64 v1, null, s3, v1, vcc_lo
	v_cmp_le_i64_e32 vcc_lo, s[8:9], v[0:1]
	s_or_b32 s1, vcc_lo, s1
	v_ldexp_f64 v[4:5], v[4:5], 32
	v_add_f64 v[4:5], v[4:5], v[6:7]
	v_fma_f64 v[4:5], s[12:13], v[4:5], s[10:11]
	global_store_dwordx2 v[2:3], v[4:5], off
	v_add_co_u32 v2, s0, v2, s4
	v_add_co_ci_u32_e64 v3, null, s5, v3, s0
	s_andn2_b32 exec_lo, exec_lo, s1
	s_cbranch_execnz .LBB73_2
.LBB73_3:
	s_endpgm
	.section	.rodata,"a",@progbits
	.p2align	6, 0x0
	.amdhsa_kernel _ZN12_GLOBAL__N_141elementwise_kernel_with_index_grid_strideIlZZZN2at6native15arange_cuda_outERKN3c106ScalarES6_S6_RNS1_6TensorEENKUlvE_clEvENKUlvE4_clEvEUllE_EEvT_T0_PN15function_traitsISD_E11result_typeE
		.amdhsa_group_segment_fixed_size 0
		.amdhsa_private_segment_fixed_size 0
		.amdhsa_kernarg_size 288
		.amdhsa_user_sgpr_count 6
		.amdhsa_user_sgpr_private_segment_buffer 1
		.amdhsa_user_sgpr_dispatch_ptr 0
		.amdhsa_user_sgpr_queue_ptr 0
		.amdhsa_user_sgpr_kernarg_segment_ptr 1
		.amdhsa_user_sgpr_dispatch_id 0
		.amdhsa_user_sgpr_flat_scratch_init 0
		.amdhsa_user_sgpr_private_segment_size 0
		.amdhsa_wavefront_size32 1
		.amdhsa_uses_dynamic_stack 0
		.amdhsa_system_sgpr_private_segment_wavefront_offset 0
		.amdhsa_system_sgpr_workgroup_id_x 1
		.amdhsa_system_sgpr_workgroup_id_y 0
		.amdhsa_system_sgpr_workgroup_id_z 0
		.amdhsa_system_sgpr_workgroup_info 0
		.amdhsa_system_vgpr_workitem_id 0
		.amdhsa_next_free_vgpr 8
		.amdhsa_next_free_sgpr 16
		.amdhsa_reserve_vcc 1
		.amdhsa_reserve_flat_scratch 0
		.amdhsa_float_round_mode_32 0
		.amdhsa_float_round_mode_16_64 0
		.amdhsa_float_denorm_mode_32 3
		.amdhsa_float_denorm_mode_16_64 3
		.amdhsa_dx10_clamp 1
		.amdhsa_ieee_mode 1
		.amdhsa_fp16_overflow 0
		.amdhsa_workgroup_processor_mode 1
		.amdhsa_memory_ordered 1
		.amdhsa_forward_progress 1
		.amdhsa_shared_vgpr_count 0
		.amdhsa_exception_fp_ieee_invalid_op 0
		.amdhsa_exception_fp_denorm_src 0
		.amdhsa_exception_fp_ieee_div_zero 0
		.amdhsa_exception_fp_ieee_overflow 0
		.amdhsa_exception_fp_ieee_underflow 0
		.amdhsa_exception_fp_ieee_inexact 0
		.amdhsa_exception_int_div_zero 0
	.end_amdhsa_kernel
	.section	.text._ZN12_GLOBAL__N_141elementwise_kernel_with_index_grid_strideIlZZZN2at6native15arange_cuda_outERKN3c106ScalarES6_S6_RNS1_6TensorEENKUlvE_clEvENKUlvE4_clEvEUllE_EEvT_T0_PN15function_traitsISD_E11result_typeE,"axG",@progbits,_ZN12_GLOBAL__N_141elementwise_kernel_with_index_grid_strideIlZZZN2at6native15arange_cuda_outERKN3c106ScalarES6_S6_RNS1_6TensorEENKUlvE_clEvENKUlvE4_clEvEUllE_EEvT_T0_PN15function_traitsISD_E11result_typeE,comdat
.Lfunc_end73:
	.size	_ZN12_GLOBAL__N_141elementwise_kernel_with_index_grid_strideIlZZZN2at6native15arange_cuda_outERKN3c106ScalarES6_S6_RNS1_6TensorEENKUlvE_clEvENKUlvE4_clEvEUllE_EEvT_T0_PN15function_traitsISD_E11result_typeE, .Lfunc_end73-_ZN12_GLOBAL__N_141elementwise_kernel_with_index_grid_strideIlZZZN2at6native15arange_cuda_outERKN3c106ScalarES6_S6_RNS1_6TensorEENKUlvE_clEvENKUlvE4_clEvEUllE_EEvT_T0_PN15function_traitsISD_E11result_typeE
                                        ; -- End function
	.set _ZN12_GLOBAL__N_141elementwise_kernel_with_index_grid_strideIlZZZN2at6native15arange_cuda_outERKN3c106ScalarES6_S6_RNS1_6TensorEENKUlvE_clEvENKUlvE4_clEvEUllE_EEvT_T0_PN15function_traitsISD_E11result_typeE.num_vgpr, 8
	.set _ZN12_GLOBAL__N_141elementwise_kernel_with_index_grid_strideIlZZZN2at6native15arange_cuda_outERKN3c106ScalarES6_S6_RNS1_6TensorEENKUlvE_clEvENKUlvE4_clEvEUllE_EEvT_T0_PN15function_traitsISD_E11result_typeE.num_agpr, 0
	.set _ZN12_GLOBAL__N_141elementwise_kernel_with_index_grid_strideIlZZZN2at6native15arange_cuda_outERKN3c106ScalarES6_S6_RNS1_6TensorEENKUlvE_clEvENKUlvE4_clEvEUllE_EEvT_T0_PN15function_traitsISD_E11result_typeE.numbered_sgpr, 16
	.set _ZN12_GLOBAL__N_141elementwise_kernel_with_index_grid_strideIlZZZN2at6native15arange_cuda_outERKN3c106ScalarES6_S6_RNS1_6TensorEENKUlvE_clEvENKUlvE4_clEvEUllE_EEvT_T0_PN15function_traitsISD_E11result_typeE.num_named_barrier, 0
	.set _ZN12_GLOBAL__N_141elementwise_kernel_with_index_grid_strideIlZZZN2at6native15arange_cuda_outERKN3c106ScalarES6_S6_RNS1_6TensorEENKUlvE_clEvENKUlvE4_clEvEUllE_EEvT_T0_PN15function_traitsISD_E11result_typeE.private_seg_size, 0
	.set _ZN12_GLOBAL__N_141elementwise_kernel_with_index_grid_strideIlZZZN2at6native15arange_cuda_outERKN3c106ScalarES6_S6_RNS1_6TensorEENKUlvE_clEvENKUlvE4_clEvEUllE_EEvT_T0_PN15function_traitsISD_E11result_typeE.uses_vcc, 1
	.set _ZN12_GLOBAL__N_141elementwise_kernel_with_index_grid_strideIlZZZN2at6native15arange_cuda_outERKN3c106ScalarES6_S6_RNS1_6TensorEENKUlvE_clEvENKUlvE4_clEvEUllE_EEvT_T0_PN15function_traitsISD_E11result_typeE.uses_flat_scratch, 0
	.set _ZN12_GLOBAL__N_141elementwise_kernel_with_index_grid_strideIlZZZN2at6native15arange_cuda_outERKN3c106ScalarES6_S6_RNS1_6TensorEENKUlvE_clEvENKUlvE4_clEvEUllE_EEvT_T0_PN15function_traitsISD_E11result_typeE.has_dyn_sized_stack, 0
	.set _ZN12_GLOBAL__N_141elementwise_kernel_with_index_grid_strideIlZZZN2at6native15arange_cuda_outERKN3c106ScalarES6_S6_RNS1_6TensorEENKUlvE_clEvENKUlvE4_clEvEUllE_EEvT_T0_PN15function_traitsISD_E11result_typeE.has_recursion, 0
	.set _ZN12_GLOBAL__N_141elementwise_kernel_with_index_grid_strideIlZZZN2at6native15arange_cuda_outERKN3c106ScalarES6_S6_RNS1_6TensorEENKUlvE_clEvENKUlvE4_clEvEUllE_EEvT_T0_PN15function_traitsISD_E11result_typeE.has_indirect_call, 0
	.section	.AMDGPU.csdata,"",@progbits
; Kernel info:
; codeLenInByte = 220
; TotalNumSgprs: 18
; NumVgprs: 8
; ScratchSize: 0
; MemoryBound: 0
; FloatMode: 240
; IeeeMode: 1
; LDSByteSize: 0 bytes/workgroup (compile time only)
; SGPRBlocks: 0
; VGPRBlocks: 0
; NumSGPRsForWavesPerEU: 18
; NumVGPRsForWavesPerEU: 8
; Occupancy: 16
; WaveLimiterHint : 0
; COMPUTE_PGM_RSRC2:SCRATCH_EN: 0
; COMPUTE_PGM_RSRC2:USER_SGPR: 6
; COMPUTE_PGM_RSRC2:TRAP_HANDLER: 0
; COMPUTE_PGM_RSRC2:TGID_X_EN: 1
; COMPUTE_PGM_RSRC2:TGID_Y_EN: 0
; COMPUTE_PGM_RSRC2:TGID_Z_EN: 0
; COMPUTE_PGM_RSRC2:TIDIG_COMP_CNT: 0
	.section	.text._ZN12_GLOBAL__N_141elementwise_kernel_with_index_grid_strideIiZZZN2at6native15arange_cuda_outERKN3c106ScalarES6_S6_RNS1_6TensorEENKUlvE_clEvENKUlvE5_clEvEUllE_EEvT_T0_PN15function_traitsISD_E11result_typeE,"axG",@progbits,_ZN12_GLOBAL__N_141elementwise_kernel_with_index_grid_strideIiZZZN2at6native15arange_cuda_outERKN3c106ScalarES6_S6_RNS1_6TensorEENKUlvE_clEvENKUlvE5_clEvEUllE_EEvT_T0_PN15function_traitsISD_E11result_typeE,comdat
	.globl	_ZN12_GLOBAL__N_141elementwise_kernel_with_index_grid_strideIiZZZN2at6native15arange_cuda_outERKN3c106ScalarES6_S6_RNS1_6TensorEENKUlvE_clEvENKUlvE5_clEvEUllE_EEvT_T0_PN15function_traitsISD_E11result_typeE ; -- Begin function _ZN12_GLOBAL__N_141elementwise_kernel_with_index_grid_strideIiZZZN2at6native15arange_cuda_outERKN3c106ScalarES6_S6_RNS1_6TensorEENKUlvE_clEvENKUlvE5_clEvEUllE_EEvT_T0_PN15function_traitsISD_E11result_typeE
	.p2align	8
	.type	_ZN12_GLOBAL__N_141elementwise_kernel_with_index_grid_strideIiZZZN2at6native15arange_cuda_outERKN3c106ScalarES6_S6_RNS1_6TensorEENKUlvE_clEvENKUlvE5_clEvEUllE_EEvT_T0_PN15function_traitsISD_E11result_typeE,@function
_ZN12_GLOBAL__N_141elementwise_kernel_with_index_grid_strideIiZZZN2at6native15arange_cuda_outERKN3c106ScalarES6_S6_RNS1_6TensorEENKUlvE_clEvENKUlvE5_clEvEUllE_EEvT_T0_PN15function_traitsISD_E11result_typeE: ; @_ZN12_GLOBAL__N_141elementwise_kernel_with_index_grid_strideIiZZZN2at6native15arange_cuda_outERKN3c106ScalarES6_S6_RNS1_6TensorEENKUlvE_clEvENKUlvE5_clEvEUllE_EEvT_T0_PN15function_traitsISD_E11result_typeE
; %bb.0:
	s_clause 0x1
	s_load_dword s2, s[4:5], 0x24
	s_load_dwordx4 s[8:11], s[4:5], 0x0
	s_add_u32 s0, s4, 24
	s_addc_u32 s1, s5, 0
	s_mov_b32 s3, exec_lo
	s_waitcnt lgkmcnt(0)
	s_and_b32 s2, s2, 0xffff
	v_mad_u64_u32 v[0:1], null, s6, s2, v[0:1]
	v_cmpx_gt_i32_e64 s8, v0
	s_cbranch_execz .LBB74_3
; %bb.1:
	s_load_dword s3, s[0:1], 0x0
	s_load_dwordx2 s[0:1], s[4:5], 0x10
	v_ashrrev_i32_e32 v1, 31, v0
	v_lshlrev_b64 v[1:2], 2, v[0:1]
	s_waitcnt lgkmcnt(0)
	s_mul_i32 s2, s3, s2
	v_add_co_u32 v1, vcc_lo, s0, v1
	v_add_co_ci_u32_e64 v2, null, s1, v2, vcc_lo
	s_ashr_i32 s3, s2, 31
	s_mov_b32 s1, 0
	s_lshl_b64 s[4:5], s[2:3], 2
.LBB74_2:                               ; =>This Inner Loop Header: Depth=1
	v_cvt_f32_i32_e32 v3, v0
	v_add_nc_u32_e32 v0, s2, v0
	v_fma_f32 v3, s10, v3, s9
	v_cmp_le_i32_e32 vcc_lo, s8, v0
	global_store_dword v[1:2], v3, off
	v_add_co_u32 v1, s0, v1, s4
	v_add_co_ci_u32_e64 v2, null, s5, v2, s0
	s_or_b32 s1, vcc_lo, s1
	s_andn2_b32 exec_lo, exec_lo, s1
	s_cbranch_execnz .LBB74_2
.LBB74_3:
	s_endpgm
	.section	.rodata,"a",@progbits
	.p2align	6, 0x0
	.amdhsa_kernel _ZN12_GLOBAL__N_141elementwise_kernel_with_index_grid_strideIiZZZN2at6native15arange_cuda_outERKN3c106ScalarES6_S6_RNS1_6TensorEENKUlvE_clEvENKUlvE5_clEvEUllE_EEvT_T0_PN15function_traitsISD_E11result_typeE
		.amdhsa_group_segment_fixed_size 0
		.amdhsa_private_segment_fixed_size 0
		.amdhsa_kernarg_size 280
		.amdhsa_user_sgpr_count 6
		.amdhsa_user_sgpr_private_segment_buffer 1
		.amdhsa_user_sgpr_dispatch_ptr 0
		.amdhsa_user_sgpr_queue_ptr 0
		.amdhsa_user_sgpr_kernarg_segment_ptr 1
		.amdhsa_user_sgpr_dispatch_id 0
		.amdhsa_user_sgpr_flat_scratch_init 0
		.amdhsa_user_sgpr_private_segment_size 0
		.amdhsa_wavefront_size32 1
		.amdhsa_uses_dynamic_stack 0
		.amdhsa_system_sgpr_private_segment_wavefront_offset 0
		.amdhsa_system_sgpr_workgroup_id_x 1
		.amdhsa_system_sgpr_workgroup_id_y 0
		.amdhsa_system_sgpr_workgroup_id_z 0
		.amdhsa_system_sgpr_workgroup_info 0
		.amdhsa_system_vgpr_workitem_id 0
		.amdhsa_next_free_vgpr 4
		.amdhsa_next_free_sgpr 12
		.amdhsa_reserve_vcc 1
		.amdhsa_reserve_flat_scratch 0
		.amdhsa_float_round_mode_32 0
		.amdhsa_float_round_mode_16_64 0
		.amdhsa_float_denorm_mode_32 3
		.amdhsa_float_denorm_mode_16_64 3
		.amdhsa_dx10_clamp 1
		.amdhsa_ieee_mode 1
		.amdhsa_fp16_overflow 0
		.amdhsa_workgroup_processor_mode 1
		.amdhsa_memory_ordered 1
		.amdhsa_forward_progress 1
		.amdhsa_shared_vgpr_count 0
		.amdhsa_exception_fp_ieee_invalid_op 0
		.amdhsa_exception_fp_denorm_src 0
		.amdhsa_exception_fp_ieee_div_zero 0
		.amdhsa_exception_fp_ieee_overflow 0
		.amdhsa_exception_fp_ieee_underflow 0
		.amdhsa_exception_fp_ieee_inexact 0
		.amdhsa_exception_int_div_zero 0
	.end_amdhsa_kernel
	.section	.text._ZN12_GLOBAL__N_141elementwise_kernel_with_index_grid_strideIiZZZN2at6native15arange_cuda_outERKN3c106ScalarES6_S6_RNS1_6TensorEENKUlvE_clEvENKUlvE5_clEvEUllE_EEvT_T0_PN15function_traitsISD_E11result_typeE,"axG",@progbits,_ZN12_GLOBAL__N_141elementwise_kernel_with_index_grid_strideIiZZZN2at6native15arange_cuda_outERKN3c106ScalarES6_S6_RNS1_6TensorEENKUlvE_clEvENKUlvE5_clEvEUllE_EEvT_T0_PN15function_traitsISD_E11result_typeE,comdat
.Lfunc_end74:
	.size	_ZN12_GLOBAL__N_141elementwise_kernel_with_index_grid_strideIiZZZN2at6native15arange_cuda_outERKN3c106ScalarES6_S6_RNS1_6TensorEENKUlvE_clEvENKUlvE5_clEvEUllE_EEvT_T0_PN15function_traitsISD_E11result_typeE, .Lfunc_end74-_ZN12_GLOBAL__N_141elementwise_kernel_with_index_grid_strideIiZZZN2at6native15arange_cuda_outERKN3c106ScalarES6_S6_RNS1_6TensorEENKUlvE_clEvENKUlvE5_clEvEUllE_EEvT_T0_PN15function_traitsISD_E11result_typeE
                                        ; -- End function
	.set _ZN12_GLOBAL__N_141elementwise_kernel_with_index_grid_strideIiZZZN2at6native15arange_cuda_outERKN3c106ScalarES6_S6_RNS1_6TensorEENKUlvE_clEvENKUlvE5_clEvEUllE_EEvT_T0_PN15function_traitsISD_E11result_typeE.num_vgpr, 4
	.set _ZN12_GLOBAL__N_141elementwise_kernel_with_index_grid_strideIiZZZN2at6native15arange_cuda_outERKN3c106ScalarES6_S6_RNS1_6TensorEENKUlvE_clEvENKUlvE5_clEvEUllE_EEvT_T0_PN15function_traitsISD_E11result_typeE.num_agpr, 0
	.set _ZN12_GLOBAL__N_141elementwise_kernel_with_index_grid_strideIiZZZN2at6native15arange_cuda_outERKN3c106ScalarES6_S6_RNS1_6TensorEENKUlvE_clEvENKUlvE5_clEvEUllE_EEvT_T0_PN15function_traitsISD_E11result_typeE.numbered_sgpr, 12
	.set _ZN12_GLOBAL__N_141elementwise_kernel_with_index_grid_strideIiZZZN2at6native15arange_cuda_outERKN3c106ScalarES6_S6_RNS1_6TensorEENKUlvE_clEvENKUlvE5_clEvEUllE_EEvT_T0_PN15function_traitsISD_E11result_typeE.num_named_barrier, 0
	.set _ZN12_GLOBAL__N_141elementwise_kernel_with_index_grid_strideIiZZZN2at6native15arange_cuda_outERKN3c106ScalarES6_S6_RNS1_6TensorEENKUlvE_clEvENKUlvE5_clEvEUllE_EEvT_T0_PN15function_traitsISD_E11result_typeE.private_seg_size, 0
	.set _ZN12_GLOBAL__N_141elementwise_kernel_with_index_grid_strideIiZZZN2at6native15arange_cuda_outERKN3c106ScalarES6_S6_RNS1_6TensorEENKUlvE_clEvENKUlvE5_clEvEUllE_EEvT_T0_PN15function_traitsISD_E11result_typeE.uses_vcc, 1
	.set _ZN12_GLOBAL__N_141elementwise_kernel_with_index_grid_strideIiZZZN2at6native15arange_cuda_outERKN3c106ScalarES6_S6_RNS1_6TensorEENKUlvE_clEvENKUlvE5_clEvEUllE_EEvT_T0_PN15function_traitsISD_E11result_typeE.uses_flat_scratch, 0
	.set _ZN12_GLOBAL__N_141elementwise_kernel_with_index_grid_strideIiZZZN2at6native15arange_cuda_outERKN3c106ScalarES6_S6_RNS1_6TensorEENKUlvE_clEvENKUlvE5_clEvEUllE_EEvT_T0_PN15function_traitsISD_E11result_typeE.has_dyn_sized_stack, 0
	.set _ZN12_GLOBAL__N_141elementwise_kernel_with_index_grid_strideIiZZZN2at6native15arange_cuda_outERKN3c106ScalarES6_S6_RNS1_6TensorEENKUlvE_clEvENKUlvE5_clEvEUllE_EEvT_T0_PN15function_traitsISD_E11result_typeE.has_recursion, 0
	.set _ZN12_GLOBAL__N_141elementwise_kernel_with_index_grid_strideIiZZZN2at6native15arange_cuda_outERKN3c106ScalarES6_S6_RNS1_6TensorEENKUlvE_clEvENKUlvE5_clEvEUllE_EEvT_T0_PN15function_traitsISD_E11result_typeE.has_indirect_call, 0
	.section	.AMDGPU.csdata,"",@progbits
; Kernel info:
; codeLenInByte = 188
; TotalNumSgprs: 14
; NumVgprs: 4
; ScratchSize: 0
; MemoryBound: 0
; FloatMode: 240
; IeeeMode: 1
; LDSByteSize: 0 bytes/workgroup (compile time only)
; SGPRBlocks: 0
; VGPRBlocks: 0
; NumSGPRsForWavesPerEU: 14
; NumVGPRsForWavesPerEU: 4
; Occupancy: 16
; WaveLimiterHint : 0
; COMPUTE_PGM_RSRC2:SCRATCH_EN: 0
; COMPUTE_PGM_RSRC2:USER_SGPR: 6
; COMPUTE_PGM_RSRC2:TRAP_HANDLER: 0
; COMPUTE_PGM_RSRC2:TGID_X_EN: 1
; COMPUTE_PGM_RSRC2:TGID_Y_EN: 0
; COMPUTE_PGM_RSRC2:TGID_Z_EN: 0
; COMPUTE_PGM_RSRC2:TIDIG_COMP_CNT: 0
	.section	.text._ZN12_GLOBAL__N_141elementwise_kernel_with_index_grid_strideIlZZZN2at6native15arange_cuda_outERKN3c106ScalarES6_S6_RNS1_6TensorEENKUlvE_clEvENKUlvE5_clEvEUllE_EEvT_T0_PN15function_traitsISD_E11result_typeE,"axG",@progbits,_ZN12_GLOBAL__N_141elementwise_kernel_with_index_grid_strideIlZZZN2at6native15arange_cuda_outERKN3c106ScalarES6_S6_RNS1_6TensorEENKUlvE_clEvENKUlvE5_clEvEUllE_EEvT_T0_PN15function_traitsISD_E11result_typeE,comdat
	.globl	_ZN12_GLOBAL__N_141elementwise_kernel_with_index_grid_strideIlZZZN2at6native15arange_cuda_outERKN3c106ScalarES6_S6_RNS1_6TensorEENKUlvE_clEvENKUlvE5_clEvEUllE_EEvT_T0_PN15function_traitsISD_E11result_typeE ; -- Begin function _ZN12_GLOBAL__N_141elementwise_kernel_with_index_grid_strideIlZZZN2at6native15arange_cuda_outERKN3c106ScalarES6_S6_RNS1_6TensorEENKUlvE_clEvENKUlvE5_clEvEUllE_EEvT_T0_PN15function_traitsISD_E11result_typeE
	.p2align	8
	.type	_ZN12_GLOBAL__N_141elementwise_kernel_with_index_grid_strideIlZZZN2at6native15arange_cuda_outERKN3c106ScalarES6_S6_RNS1_6TensorEENKUlvE_clEvENKUlvE5_clEvEUllE_EEvT_T0_PN15function_traitsISD_E11result_typeE,@function
_ZN12_GLOBAL__N_141elementwise_kernel_with_index_grid_strideIlZZZN2at6native15arange_cuda_outERKN3c106ScalarES6_S6_RNS1_6TensorEENKUlvE_clEvENKUlvE5_clEvEUllE_EEvT_T0_PN15function_traitsISD_E11result_typeE: ; @_ZN12_GLOBAL__N_141elementwise_kernel_with_index_grid_strideIlZZZN2at6native15arange_cuda_outERKN3c106ScalarES6_S6_RNS1_6TensorEENKUlvE_clEvENKUlvE5_clEvEUllE_EEvT_T0_PN15function_traitsISD_E11result_typeE
; %bb.0:
	s_clause 0x1
	s_load_dword s7, s[4:5], 0x24
	s_load_dwordx2 s[2:3], s[4:5], 0x0
	v_mov_b32_e32 v1, 0
	s_add_u32 s0, s4, 24
	s_addc_u32 s1, s5, 0
	s_waitcnt lgkmcnt(0)
	s_and_b32 s8, s7, 0xffff
	v_mad_u64_u32 v[0:1], null, s8, s6, v[0:1]
	s_mov_b32 s6, exec_lo
	v_cmpx_gt_i64_e64 s[2:3], v[0:1]
	s_cbranch_execz .LBB75_3
; %bb.1:
	s_load_dword s0, s[0:1], 0x0
	s_load_dwordx4 s[4:7], s[4:5], 0x8
	v_lshlrev_b64 v[2:3], 2, v[0:1]
	s_mov_b32 s1, 0
	s_waitcnt lgkmcnt(0)
	s_mul_hi_u32 s9, s8, s0
	v_add_co_u32 v2, vcc_lo, s6, v2
	v_add_co_ci_u32_e64 v3, null, s7, v3, vcc_lo
	s_mul_i32 s8, s8, s0
	s_lshl_b64 s[6:7], s[8:9], 2
	.p2align	6
.LBB75_2:                               ; =>This Inner Loop Header: Depth=1
	v_ffbh_u32_e32 v4, v1
	v_min_u32_e32 v6, 32, v4
	v_lshlrev_b64 v[4:5], v6, v[0:1]
	v_sub_nc_u32_e32 v6, 32, v6
	v_add_co_u32 v0, vcc_lo, v0, s8
	v_add_co_ci_u32_e64 v1, null, s9, v1, vcc_lo
	v_min_u32_e32 v4, 1, v4
	v_cmp_le_i64_e32 vcc_lo, s[2:3], v[0:1]
	v_or_b32_e32 v4, v5, v4
	s_or_b32 s1, vcc_lo, s1
	v_cvt_f32_u32_e32 v4, v4
	v_ldexp_f32 v4, v4, v6
	v_fma_f32 v4, s5, v4, s4
	global_store_dword v[2:3], v4, off
	v_add_co_u32 v2, s0, v2, s6
	v_add_co_ci_u32_e64 v3, null, s7, v3, s0
	s_andn2_b32 exec_lo, exec_lo, s1
	s_cbranch_execnz .LBB75_2
.LBB75_3:
	s_endpgm
	.section	.rodata,"a",@progbits
	.p2align	6, 0x0
	.amdhsa_kernel _ZN12_GLOBAL__N_141elementwise_kernel_with_index_grid_strideIlZZZN2at6native15arange_cuda_outERKN3c106ScalarES6_S6_RNS1_6TensorEENKUlvE_clEvENKUlvE5_clEvEUllE_EEvT_T0_PN15function_traitsISD_E11result_typeE
		.amdhsa_group_segment_fixed_size 0
		.amdhsa_private_segment_fixed_size 0
		.amdhsa_kernarg_size 280
		.amdhsa_user_sgpr_count 6
		.amdhsa_user_sgpr_private_segment_buffer 1
		.amdhsa_user_sgpr_dispatch_ptr 0
		.amdhsa_user_sgpr_queue_ptr 0
		.amdhsa_user_sgpr_kernarg_segment_ptr 1
		.amdhsa_user_sgpr_dispatch_id 0
		.amdhsa_user_sgpr_flat_scratch_init 0
		.amdhsa_user_sgpr_private_segment_size 0
		.amdhsa_wavefront_size32 1
		.amdhsa_uses_dynamic_stack 0
		.amdhsa_system_sgpr_private_segment_wavefront_offset 0
		.amdhsa_system_sgpr_workgroup_id_x 1
		.amdhsa_system_sgpr_workgroup_id_y 0
		.amdhsa_system_sgpr_workgroup_id_z 0
		.amdhsa_system_sgpr_workgroup_info 0
		.amdhsa_system_vgpr_workitem_id 0
		.amdhsa_next_free_vgpr 7
		.amdhsa_next_free_sgpr 10
		.amdhsa_reserve_vcc 1
		.amdhsa_reserve_flat_scratch 0
		.amdhsa_float_round_mode_32 0
		.amdhsa_float_round_mode_16_64 0
		.amdhsa_float_denorm_mode_32 3
		.amdhsa_float_denorm_mode_16_64 3
		.amdhsa_dx10_clamp 1
		.amdhsa_ieee_mode 1
		.amdhsa_fp16_overflow 0
		.amdhsa_workgroup_processor_mode 1
		.amdhsa_memory_ordered 1
		.amdhsa_forward_progress 1
		.amdhsa_shared_vgpr_count 0
		.amdhsa_exception_fp_ieee_invalid_op 0
		.amdhsa_exception_fp_denorm_src 0
		.amdhsa_exception_fp_ieee_div_zero 0
		.amdhsa_exception_fp_ieee_overflow 0
		.amdhsa_exception_fp_ieee_underflow 0
		.amdhsa_exception_fp_ieee_inexact 0
		.amdhsa_exception_int_div_zero 0
	.end_amdhsa_kernel
	.section	.text._ZN12_GLOBAL__N_141elementwise_kernel_with_index_grid_strideIlZZZN2at6native15arange_cuda_outERKN3c106ScalarES6_S6_RNS1_6TensorEENKUlvE_clEvENKUlvE5_clEvEUllE_EEvT_T0_PN15function_traitsISD_E11result_typeE,"axG",@progbits,_ZN12_GLOBAL__N_141elementwise_kernel_with_index_grid_strideIlZZZN2at6native15arange_cuda_outERKN3c106ScalarES6_S6_RNS1_6TensorEENKUlvE_clEvENKUlvE5_clEvEUllE_EEvT_T0_PN15function_traitsISD_E11result_typeE,comdat
.Lfunc_end75:
	.size	_ZN12_GLOBAL__N_141elementwise_kernel_with_index_grid_strideIlZZZN2at6native15arange_cuda_outERKN3c106ScalarES6_S6_RNS1_6TensorEENKUlvE_clEvENKUlvE5_clEvEUllE_EEvT_T0_PN15function_traitsISD_E11result_typeE, .Lfunc_end75-_ZN12_GLOBAL__N_141elementwise_kernel_with_index_grid_strideIlZZZN2at6native15arange_cuda_outERKN3c106ScalarES6_S6_RNS1_6TensorEENKUlvE_clEvENKUlvE5_clEvEUllE_EEvT_T0_PN15function_traitsISD_E11result_typeE
                                        ; -- End function
	.set _ZN12_GLOBAL__N_141elementwise_kernel_with_index_grid_strideIlZZZN2at6native15arange_cuda_outERKN3c106ScalarES6_S6_RNS1_6TensorEENKUlvE_clEvENKUlvE5_clEvEUllE_EEvT_T0_PN15function_traitsISD_E11result_typeE.num_vgpr, 7
	.set _ZN12_GLOBAL__N_141elementwise_kernel_with_index_grid_strideIlZZZN2at6native15arange_cuda_outERKN3c106ScalarES6_S6_RNS1_6TensorEENKUlvE_clEvENKUlvE5_clEvEUllE_EEvT_T0_PN15function_traitsISD_E11result_typeE.num_agpr, 0
	.set _ZN12_GLOBAL__N_141elementwise_kernel_with_index_grid_strideIlZZZN2at6native15arange_cuda_outERKN3c106ScalarES6_S6_RNS1_6TensorEENKUlvE_clEvENKUlvE5_clEvEUllE_EEvT_T0_PN15function_traitsISD_E11result_typeE.numbered_sgpr, 10
	.set _ZN12_GLOBAL__N_141elementwise_kernel_with_index_grid_strideIlZZZN2at6native15arange_cuda_outERKN3c106ScalarES6_S6_RNS1_6TensorEENKUlvE_clEvENKUlvE5_clEvEUllE_EEvT_T0_PN15function_traitsISD_E11result_typeE.num_named_barrier, 0
	.set _ZN12_GLOBAL__N_141elementwise_kernel_with_index_grid_strideIlZZZN2at6native15arange_cuda_outERKN3c106ScalarES6_S6_RNS1_6TensorEENKUlvE_clEvENKUlvE5_clEvEUllE_EEvT_T0_PN15function_traitsISD_E11result_typeE.private_seg_size, 0
	.set _ZN12_GLOBAL__N_141elementwise_kernel_with_index_grid_strideIlZZZN2at6native15arange_cuda_outERKN3c106ScalarES6_S6_RNS1_6TensorEENKUlvE_clEvENKUlvE5_clEvEUllE_EEvT_T0_PN15function_traitsISD_E11result_typeE.uses_vcc, 1
	.set _ZN12_GLOBAL__N_141elementwise_kernel_with_index_grid_strideIlZZZN2at6native15arange_cuda_outERKN3c106ScalarES6_S6_RNS1_6TensorEENKUlvE_clEvENKUlvE5_clEvEUllE_EEvT_T0_PN15function_traitsISD_E11result_typeE.uses_flat_scratch, 0
	.set _ZN12_GLOBAL__N_141elementwise_kernel_with_index_grid_strideIlZZZN2at6native15arange_cuda_outERKN3c106ScalarES6_S6_RNS1_6TensorEENKUlvE_clEvENKUlvE5_clEvEUllE_EEvT_T0_PN15function_traitsISD_E11result_typeE.has_dyn_sized_stack, 0
	.set _ZN12_GLOBAL__N_141elementwise_kernel_with_index_grid_strideIlZZZN2at6native15arange_cuda_outERKN3c106ScalarES6_S6_RNS1_6TensorEENKUlvE_clEvENKUlvE5_clEvEUllE_EEvT_T0_PN15function_traitsISD_E11result_typeE.has_recursion, 0
	.set _ZN12_GLOBAL__N_141elementwise_kernel_with_index_grid_strideIlZZZN2at6native15arange_cuda_outERKN3c106ScalarES6_S6_RNS1_6TensorEENKUlvE_clEvENKUlvE5_clEvEUllE_EEvT_T0_PN15function_traitsISD_E11result_typeE.has_indirect_call, 0
	.section	.AMDGPU.csdata,"",@progbits
; Kernel info:
; codeLenInByte = 236
; TotalNumSgprs: 12
; NumVgprs: 7
; ScratchSize: 0
; MemoryBound: 0
; FloatMode: 240
; IeeeMode: 1
; LDSByteSize: 0 bytes/workgroup (compile time only)
; SGPRBlocks: 0
; VGPRBlocks: 0
; NumSGPRsForWavesPerEU: 12
; NumVGPRsForWavesPerEU: 7
; Occupancy: 16
; WaveLimiterHint : 0
; COMPUTE_PGM_RSRC2:SCRATCH_EN: 0
; COMPUTE_PGM_RSRC2:USER_SGPR: 6
; COMPUTE_PGM_RSRC2:TRAP_HANDLER: 0
; COMPUTE_PGM_RSRC2:TGID_X_EN: 1
; COMPUTE_PGM_RSRC2:TGID_Y_EN: 0
; COMPUTE_PGM_RSRC2:TGID_Z_EN: 0
; COMPUTE_PGM_RSRC2:TIDIG_COMP_CNT: 0
	.section	.text._ZN12_GLOBAL__N_141elementwise_kernel_with_index_grid_strideIiZZZN2at6native15arange_cuda_outERKN3c106ScalarES6_S6_RNS1_6TensorEENKUlvE_clEvENKUlvE6_clEvEUllE_EEvT_T0_PN15function_traitsISD_E11result_typeE,"axG",@progbits,_ZN12_GLOBAL__N_141elementwise_kernel_with_index_grid_strideIiZZZN2at6native15arange_cuda_outERKN3c106ScalarES6_S6_RNS1_6TensorEENKUlvE_clEvENKUlvE6_clEvEUllE_EEvT_T0_PN15function_traitsISD_E11result_typeE,comdat
	.globl	_ZN12_GLOBAL__N_141elementwise_kernel_with_index_grid_strideIiZZZN2at6native15arange_cuda_outERKN3c106ScalarES6_S6_RNS1_6TensorEENKUlvE_clEvENKUlvE6_clEvEUllE_EEvT_T0_PN15function_traitsISD_E11result_typeE ; -- Begin function _ZN12_GLOBAL__N_141elementwise_kernel_with_index_grid_strideIiZZZN2at6native15arange_cuda_outERKN3c106ScalarES6_S6_RNS1_6TensorEENKUlvE_clEvENKUlvE6_clEvEUllE_EEvT_T0_PN15function_traitsISD_E11result_typeE
	.p2align	8
	.type	_ZN12_GLOBAL__N_141elementwise_kernel_with_index_grid_strideIiZZZN2at6native15arange_cuda_outERKN3c106ScalarES6_S6_RNS1_6TensorEENKUlvE_clEvENKUlvE6_clEvEUllE_EEvT_T0_PN15function_traitsISD_E11result_typeE,@function
_ZN12_GLOBAL__N_141elementwise_kernel_with_index_grid_strideIiZZZN2at6native15arange_cuda_outERKN3c106ScalarES6_S6_RNS1_6TensorEENKUlvE_clEvENKUlvE6_clEvEUllE_EEvT_T0_PN15function_traitsISD_E11result_typeE: ; @_ZN12_GLOBAL__N_141elementwise_kernel_with_index_grid_strideIiZZZN2at6native15arange_cuda_outERKN3c106ScalarES6_S6_RNS1_6TensorEENKUlvE_clEvENKUlvE6_clEvEUllE_EEvT_T0_PN15function_traitsISD_E11result_typeE
; %bb.0:
	s_clause 0x1
	s_load_dword s2, s[4:5], 0x24
	s_load_dwordx4 s[8:11], s[4:5], 0x0
	s_add_u32 s0, s4, 24
	s_addc_u32 s1, s5, 0
	s_waitcnt lgkmcnt(0)
	s_and_b32 s3, s2, 0xffff
	s_mov_b32 s2, exec_lo
	v_mad_u64_u32 v[1:2], null, s6, s3, v[0:1]
	v_cmpx_gt_i32_e64 s8, v1
	s_cbranch_execz .LBB76_8
; %bb.1:
	s_load_dword s0, s[0:1], 0x0
	s_load_dwordx2 s[4:5], s[4:5], 0x10
	s_waitcnt lgkmcnt(0)
	s_mul_i32 s2, s0, s3
	s_add_i32 s0, s6, s0
	v_cvt_f32_u32_e32 v2, s2
	s_sub_i32 s1, 0, s2
	s_mul_i32 s0, s0, s3
	s_mov_b32 s3, 0
	v_add_nc_u32_e32 v4, s0, v0
	v_rcp_iflag_f32_e32 v2, v2
	v_cmp_gt_i32_e32 vcc_lo, s8, v4
	v_max_i32_e32 v5, s8, v4
	v_add_co_ci_u32_e64 v0, null, s0, v0, vcc_lo
	v_mul_f32_e32 v2, 0x4f7ffffe, v2
	v_sub_nc_u32_e32 v0, v5, v0
	v_cvt_u32_f32_e32 v2, v2
	v_mul_lo_u32 v3, s1, v2
	s_mov_b32 s1, exec_lo
	v_mul_hi_u32 v3, v2, v3
	v_add_nc_u32_e32 v2, v2, v3
	v_mul_hi_u32 v2, v0, v2
	v_mul_lo_u32 v3, v2, s2
	v_sub_nc_u32_e32 v0, v0, v3
	v_add_nc_u32_e32 v3, 1, v2
	v_subrev_nc_u32_e32 v4, s2, v0
	v_cmp_le_u32_e64 s0, s2, v0
	v_cndmask_b32_e64 v2, v2, v3, s0
	v_cndmask_b32_e64 v0, v0, v4, s0
	v_add_nc_u32_e32 v3, 1, v2
	v_cmp_le_u32_e64 s0, s2, v0
	v_cndmask_b32_e64 v0, v2, v3, s0
	s_mov_b32 s0, -1
	v_add_co_ci_u32_e64 v0, null, 1, v0, vcc_lo
	v_cmpx_lt_u32_e32 1, v0
	s_cbranch_execz .LBB76_5
; %bb.2:
	v_add_nc_u32_e32 v2, s2, v1
	v_and_b32_e32 v4, -2, v0
	s_lshl_b32 s11, s2, 1
	s_mov_b32 s6, s10
	s_mov_b32 s7, s9
	v_mov_b32_e32 v3, v2
	v_mov_b32_e32 v5, v4
	;; [unrolled: 1-line block ×3, first 2 shown]
	s_mov_b32 s12, s9
	s_mov_b32 s13, s11
	s_inst_prefetch 0x1
	.p2align	6
.LBB76_3:                               ; =>This Inner Loop Header: Depth=1
	v_ashrrev_i32_e32 v9, 31, v2
	v_mov_b32_e32 v8, v2
	v_ashrrev_i32_e32 v7, 31, v3
	v_mov_b32_e32 v6, v3
	v_add_nc_u32_e32 v5, -2, v5
	v_cvt_f32_i32_e32 v11, v2
	v_lshlrev_b64 v[8:9], 1, v[8:9]
	v_cvt_f32_i32_e32 v10, v3
	v_lshlrev_b64 v[6:7], 1, v[6:7]
	v_cmp_eq_u32_e32 vcc_lo, 0, v5
	v_add_nc_u32_e32 v3, s13, v3
	v_fma_mixlo_f16 v11, s10, v11, s7
	v_add_co_u32 v8, s0, s4, v8
	v_add_co_ci_u32_e64 v9, null, s5, v9, s0
	v_add_co_u32 v6, s0, s4, v6
	v_add_nc_u32_e32 v2, s11, v2
	v_fma_mixlo_f16 v10, s6, v10, s12
	v_add_co_ci_u32_e64 v7, null, s5, v7, s0
	s_or_b32 s3, vcc_lo, s3
	global_store_short v[8:9], v11, off
	global_store_short v[6:7], v10, off
	s_andn2_b32 exec_lo, exec_lo, s3
	s_cbranch_execnz .LBB76_3
; %bb.4:
	s_inst_prefetch 0x2
	s_or_b32 exec_lo, exec_lo, s3
	v_mad_u64_u32 v[1:2], null, v4, s2, v[1:2]
	v_cmp_ne_u32_e32 vcc_lo, v0, v4
	s_orn2_b32 s0, vcc_lo, exec_lo
.LBB76_5:
	s_or_b32 exec_lo, exec_lo, s1
	s_and_b32 exec_lo, exec_lo, s0
	s_cbranch_execz .LBB76_8
; %bb.6:
	v_ashrrev_i32_e32 v2, 31, v1
	s_ashr_i32 s3, s2, 31
	s_mov_b32 s1, 0
	v_lshlrev_b64 v[2:3], 1, v[1:2]
	v_add_co_u32 v2, vcc_lo, s4, v2
	v_add_co_ci_u32_e64 v3, null, s5, v3, vcc_lo
	s_lshl_b64 s[4:5], s[2:3], 1
.LBB76_7:                               ; =>This Inner Loop Header: Depth=1
	v_cvt_f32_i32_e32 v0, v1
	v_add_nc_u32_e32 v1, s2, v1
	v_fma_mixlo_f16 v0, s10, v0, s9
	v_cmp_le_i32_e32 vcc_lo, s8, v1
	global_store_short v[2:3], v0, off
	v_add_co_u32 v2, s0, v2, s4
	v_add_co_ci_u32_e64 v3, null, s5, v3, s0
	s_or_b32 s1, vcc_lo, s1
	s_andn2_b32 exec_lo, exec_lo, s1
	s_cbranch_execnz .LBB76_7
.LBB76_8:
	s_endpgm
	.section	.rodata,"a",@progbits
	.p2align	6, 0x0
	.amdhsa_kernel _ZN12_GLOBAL__N_141elementwise_kernel_with_index_grid_strideIiZZZN2at6native15arange_cuda_outERKN3c106ScalarES6_S6_RNS1_6TensorEENKUlvE_clEvENKUlvE6_clEvEUllE_EEvT_T0_PN15function_traitsISD_E11result_typeE
		.amdhsa_group_segment_fixed_size 0
		.amdhsa_private_segment_fixed_size 0
		.amdhsa_kernarg_size 280
		.amdhsa_user_sgpr_count 6
		.amdhsa_user_sgpr_private_segment_buffer 1
		.amdhsa_user_sgpr_dispatch_ptr 0
		.amdhsa_user_sgpr_queue_ptr 0
		.amdhsa_user_sgpr_kernarg_segment_ptr 1
		.amdhsa_user_sgpr_dispatch_id 0
		.amdhsa_user_sgpr_flat_scratch_init 0
		.amdhsa_user_sgpr_private_segment_size 0
		.amdhsa_wavefront_size32 1
		.amdhsa_uses_dynamic_stack 0
		.amdhsa_system_sgpr_private_segment_wavefront_offset 0
		.amdhsa_system_sgpr_workgroup_id_x 1
		.amdhsa_system_sgpr_workgroup_id_y 0
		.amdhsa_system_sgpr_workgroup_id_z 0
		.amdhsa_system_sgpr_workgroup_info 0
		.amdhsa_system_vgpr_workitem_id 0
		.amdhsa_next_free_vgpr 12
		.amdhsa_next_free_sgpr 14
		.amdhsa_reserve_vcc 1
		.amdhsa_reserve_flat_scratch 0
		.amdhsa_float_round_mode_32 0
		.amdhsa_float_round_mode_16_64 0
		.amdhsa_float_denorm_mode_32 3
		.amdhsa_float_denorm_mode_16_64 3
		.amdhsa_dx10_clamp 1
		.amdhsa_ieee_mode 1
		.amdhsa_fp16_overflow 0
		.amdhsa_workgroup_processor_mode 1
		.amdhsa_memory_ordered 1
		.amdhsa_forward_progress 1
		.amdhsa_shared_vgpr_count 0
		.amdhsa_exception_fp_ieee_invalid_op 0
		.amdhsa_exception_fp_denorm_src 0
		.amdhsa_exception_fp_ieee_div_zero 0
		.amdhsa_exception_fp_ieee_overflow 0
		.amdhsa_exception_fp_ieee_underflow 0
		.amdhsa_exception_fp_ieee_inexact 0
		.amdhsa_exception_int_div_zero 0
	.end_amdhsa_kernel
	.section	.text._ZN12_GLOBAL__N_141elementwise_kernel_with_index_grid_strideIiZZZN2at6native15arange_cuda_outERKN3c106ScalarES6_S6_RNS1_6TensorEENKUlvE_clEvENKUlvE6_clEvEUllE_EEvT_T0_PN15function_traitsISD_E11result_typeE,"axG",@progbits,_ZN12_GLOBAL__N_141elementwise_kernel_with_index_grid_strideIiZZZN2at6native15arange_cuda_outERKN3c106ScalarES6_S6_RNS1_6TensorEENKUlvE_clEvENKUlvE6_clEvEUllE_EEvT_T0_PN15function_traitsISD_E11result_typeE,comdat
.Lfunc_end76:
	.size	_ZN12_GLOBAL__N_141elementwise_kernel_with_index_grid_strideIiZZZN2at6native15arange_cuda_outERKN3c106ScalarES6_S6_RNS1_6TensorEENKUlvE_clEvENKUlvE6_clEvEUllE_EEvT_T0_PN15function_traitsISD_E11result_typeE, .Lfunc_end76-_ZN12_GLOBAL__N_141elementwise_kernel_with_index_grid_strideIiZZZN2at6native15arange_cuda_outERKN3c106ScalarES6_S6_RNS1_6TensorEENKUlvE_clEvENKUlvE6_clEvEUllE_EEvT_T0_PN15function_traitsISD_E11result_typeE
                                        ; -- End function
	.set _ZN12_GLOBAL__N_141elementwise_kernel_with_index_grid_strideIiZZZN2at6native15arange_cuda_outERKN3c106ScalarES6_S6_RNS1_6TensorEENKUlvE_clEvENKUlvE6_clEvEUllE_EEvT_T0_PN15function_traitsISD_E11result_typeE.num_vgpr, 12
	.set _ZN12_GLOBAL__N_141elementwise_kernel_with_index_grid_strideIiZZZN2at6native15arange_cuda_outERKN3c106ScalarES6_S6_RNS1_6TensorEENKUlvE_clEvENKUlvE6_clEvEUllE_EEvT_T0_PN15function_traitsISD_E11result_typeE.num_agpr, 0
	.set _ZN12_GLOBAL__N_141elementwise_kernel_with_index_grid_strideIiZZZN2at6native15arange_cuda_outERKN3c106ScalarES6_S6_RNS1_6TensorEENKUlvE_clEvENKUlvE6_clEvEUllE_EEvT_T0_PN15function_traitsISD_E11result_typeE.numbered_sgpr, 14
	.set _ZN12_GLOBAL__N_141elementwise_kernel_with_index_grid_strideIiZZZN2at6native15arange_cuda_outERKN3c106ScalarES6_S6_RNS1_6TensorEENKUlvE_clEvENKUlvE6_clEvEUllE_EEvT_T0_PN15function_traitsISD_E11result_typeE.num_named_barrier, 0
	.set _ZN12_GLOBAL__N_141elementwise_kernel_with_index_grid_strideIiZZZN2at6native15arange_cuda_outERKN3c106ScalarES6_S6_RNS1_6TensorEENKUlvE_clEvENKUlvE6_clEvEUllE_EEvT_T0_PN15function_traitsISD_E11result_typeE.private_seg_size, 0
	.set _ZN12_GLOBAL__N_141elementwise_kernel_with_index_grid_strideIiZZZN2at6native15arange_cuda_outERKN3c106ScalarES6_S6_RNS1_6TensorEENKUlvE_clEvENKUlvE6_clEvEUllE_EEvT_T0_PN15function_traitsISD_E11result_typeE.uses_vcc, 1
	.set _ZN12_GLOBAL__N_141elementwise_kernel_with_index_grid_strideIiZZZN2at6native15arange_cuda_outERKN3c106ScalarES6_S6_RNS1_6TensorEENKUlvE_clEvENKUlvE6_clEvEUllE_EEvT_T0_PN15function_traitsISD_E11result_typeE.uses_flat_scratch, 0
	.set _ZN12_GLOBAL__N_141elementwise_kernel_with_index_grid_strideIiZZZN2at6native15arange_cuda_outERKN3c106ScalarES6_S6_RNS1_6TensorEENKUlvE_clEvENKUlvE6_clEvEUllE_EEvT_T0_PN15function_traitsISD_E11result_typeE.has_dyn_sized_stack, 0
	.set _ZN12_GLOBAL__N_141elementwise_kernel_with_index_grid_strideIiZZZN2at6native15arange_cuda_outERKN3c106ScalarES6_S6_RNS1_6TensorEENKUlvE_clEvENKUlvE6_clEvEUllE_EEvT_T0_PN15function_traitsISD_E11result_typeE.has_recursion, 0
	.set _ZN12_GLOBAL__N_141elementwise_kernel_with_index_grid_strideIiZZZN2at6native15arange_cuda_outERKN3c106ScalarES6_S6_RNS1_6TensorEENKUlvE_clEvENKUlvE6_clEvEUllE_EEvT_T0_PN15function_traitsISD_E11result_typeE.has_indirect_call, 0
	.section	.AMDGPU.csdata,"",@progbits
; Kernel info:
; codeLenInByte = 588
; TotalNumSgprs: 16
; NumVgprs: 12
; ScratchSize: 0
; MemoryBound: 0
; FloatMode: 240
; IeeeMode: 1
; LDSByteSize: 0 bytes/workgroup (compile time only)
; SGPRBlocks: 0
; VGPRBlocks: 1
; NumSGPRsForWavesPerEU: 16
; NumVGPRsForWavesPerEU: 12
; Occupancy: 16
; WaveLimiterHint : 0
; COMPUTE_PGM_RSRC2:SCRATCH_EN: 0
; COMPUTE_PGM_RSRC2:USER_SGPR: 6
; COMPUTE_PGM_RSRC2:TRAP_HANDLER: 0
; COMPUTE_PGM_RSRC2:TGID_X_EN: 1
; COMPUTE_PGM_RSRC2:TGID_Y_EN: 0
; COMPUTE_PGM_RSRC2:TGID_Z_EN: 0
; COMPUTE_PGM_RSRC2:TIDIG_COMP_CNT: 0
	.section	.text._ZN12_GLOBAL__N_141elementwise_kernel_with_index_grid_strideIlZZZN2at6native15arange_cuda_outERKN3c106ScalarES6_S6_RNS1_6TensorEENKUlvE_clEvENKUlvE6_clEvEUllE_EEvT_T0_PN15function_traitsISD_E11result_typeE,"axG",@progbits,_ZN12_GLOBAL__N_141elementwise_kernel_with_index_grid_strideIlZZZN2at6native15arange_cuda_outERKN3c106ScalarES6_S6_RNS1_6TensorEENKUlvE_clEvENKUlvE6_clEvEUllE_EEvT_T0_PN15function_traitsISD_E11result_typeE,comdat
	.globl	_ZN12_GLOBAL__N_141elementwise_kernel_with_index_grid_strideIlZZZN2at6native15arange_cuda_outERKN3c106ScalarES6_S6_RNS1_6TensorEENKUlvE_clEvENKUlvE6_clEvEUllE_EEvT_T0_PN15function_traitsISD_E11result_typeE ; -- Begin function _ZN12_GLOBAL__N_141elementwise_kernel_with_index_grid_strideIlZZZN2at6native15arange_cuda_outERKN3c106ScalarES6_S6_RNS1_6TensorEENKUlvE_clEvENKUlvE6_clEvEUllE_EEvT_T0_PN15function_traitsISD_E11result_typeE
	.p2align	8
	.type	_ZN12_GLOBAL__N_141elementwise_kernel_with_index_grid_strideIlZZZN2at6native15arange_cuda_outERKN3c106ScalarES6_S6_RNS1_6TensorEENKUlvE_clEvENKUlvE6_clEvEUllE_EEvT_T0_PN15function_traitsISD_E11result_typeE,@function
_ZN12_GLOBAL__N_141elementwise_kernel_with_index_grid_strideIlZZZN2at6native15arange_cuda_outERKN3c106ScalarES6_S6_RNS1_6TensorEENKUlvE_clEvENKUlvE6_clEvEUllE_EEvT_T0_PN15function_traitsISD_E11result_typeE: ; @_ZN12_GLOBAL__N_141elementwise_kernel_with_index_grid_strideIlZZZN2at6native15arange_cuda_outERKN3c106ScalarES6_S6_RNS1_6TensorEENKUlvE_clEvENKUlvE6_clEvEUllE_EEvT_T0_PN15function_traitsISD_E11result_typeE
; %bb.0:
	s_clause 0x1
	s_load_dword s7, s[4:5], 0x24
	s_load_dwordx2 s[2:3], s[4:5], 0x0
	v_mov_b32_e32 v1, 0
	s_add_u32 s0, s4, 24
	s_addc_u32 s1, s5, 0
	s_waitcnt lgkmcnt(0)
	s_and_b32 s8, s7, 0xffff
	s_mov_b32 s7, exec_lo
	v_mad_u64_u32 v[2:3], null, s8, s6, v[0:1]
	v_cmpx_gt_i64_e64 s[2:3], v[2:3]
	s_cbranch_execz .LBB77_14
; %bb.1:
	s_load_dword s0, s[0:1], 0x0
	s_waitcnt lgkmcnt(0)
	s_add_u32 s1, s6, s0
	s_load_dwordx2 s[6:7], s[4:5], 0x8
	v_mad_u64_u32 v[5:6], null, s1, s8, v[0:1]
	s_addc_u32 s1, 0, 0
	s_mul_hi_u32 s9, s8, s0
	v_mov_b32_e32 v0, v6
	v_mad_u64_u32 v[7:8], null, s1, s8, v[0:1]
	s_mul_i32 s8, s8, s0
	s_mov_b32 s0, exec_lo
	v_mov_b32_e32 v6, v7
	v_cmp_gt_i64_e32 vcc_lo, s[2:3], v[5:6]
	v_cndmask_b32_e64 v4, 0, 1, vcc_lo
	v_cndmask_b32_e64 v0, v7, s3, vcc_lo
	;; [unrolled: 1-line block ×3, first 2 shown]
	v_add_co_u32 v5, vcc_lo, v5, v4
	v_add_co_ci_u32_e64 v7, null, 0, v7, vcc_lo
	v_sub_co_u32 v5, vcc_lo, v6, v5
	v_sub_co_ci_u32_e64 v6, null, v0, v7, vcc_lo
	v_mov_b32_e32 v7, v1
                                        ; implicit-def: $vgpr0_vgpr1
	v_or_b32_e32 v8, s9, v6
	v_cmpx_ne_u64_e32 0, v[7:8]
	s_xor_b32 s1, exec_lo, s0
	s_cbranch_execz .LBB77_3
; %bb.2:
	v_cvt_f32_u32_e32 v0, s8
	v_cvt_f32_u32_e32 v1, s9
	s_sub_u32 s11, 0, s8
	s_subb_u32 s12, 0, s9
	v_fmamk_f32 v0, v1, 0x4f800000, v0
	v_rcp_f32_e32 v0, v0
	v_mul_f32_e32 v0, 0x5f7ffffc, v0
	v_mul_f32_e32 v1, 0x2f800000, v0
	v_trunc_f32_e32 v1, v1
	v_fmamk_f32 v0, v1, 0xcf800000, v0
	v_cvt_u32_f32_e32 v1, v1
	v_cvt_u32_f32_e32 v0, v0
	v_readfirstlane_b32 s0, v1
	v_readfirstlane_b32 s10, v0
	s_mul_i32 s13, s11, s0
	s_mul_hi_u32 s15, s11, s10
	s_mul_i32 s14, s12, s10
	s_add_i32 s13, s15, s13
	s_mul_i32 s16, s11, s10
	s_add_i32 s13, s13, s14
	s_mul_hi_u32 s15, s10, s16
	s_mul_i32 s18, s10, s13
	s_mul_hi_u32 s17, s0, s16
	s_mul_i32 s14, s0, s16
	s_mul_hi_u32 s16, s10, s13
	s_add_u32 s15, s15, s18
	s_addc_u32 s16, 0, s16
	s_mul_hi_u32 s19, s0, s13
	s_add_u32 s14, s15, s14
	s_mul_i32 s13, s0, s13
	s_addc_u32 s14, s16, s17
	s_addc_u32 s15, s19, 0
	s_add_u32 s13, s14, s13
	s_addc_u32 s14, 0, s15
	s_add_u32 s10, s10, s13
	s_cselect_b32 s13, -1, 0
	s_mul_hi_u32 s15, s11, s10
	s_cmp_lg_u32 s13, 0
	s_mul_i32 s13, s11, s10
	s_addc_u32 s0, s0, s14
	s_mul_i32 s12, s12, s10
	s_mul_i32 s11, s11, s0
	s_mul_hi_u32 s14, s10, s13
	s_add_i32 s11, s15, s11
	s_mul_hi_u32 s15, s0, s13
	s_add_i32 s11, s11, s12
	s_mul_i32 s12, s0, s13
	s_mul_i32 s17, s10, s11
	s_mul_hi_u32 s16, s10, s11
	s_add_u32 s14, s14, s17
	s_addc_u32 s16, 0, s16
	s_mul_hi_u32 s13, s0, s11
	s_add_u32 s12, s14, s12
	s_mul_i32 s11, s0, s11
	s_addc_u32 s12, s16, s15
	s_addc_u32 s13, s13, 0
	s_add_u32 s11, s12, s11
	s_addc_u32 s12, 0, s13
	s_add_u32 s10, s10, s11
	s_cselect_b32 s11, -1, 0
	v_mul_hi_u32 v11, v5, s10
	s_cmp_lg_u32 s11, 0
	v_mad_u64_u32 v[7:8], null, v6, s10, 0
	s_addc_u32 s0, s0, s12
	v_mad_u64_u32 v[0:1], null, v5, s0, 0
	v_mad_u64_u32 v[9:10], null, v6, s0, 0
	v_add_co_u32 v0, vcc_lo, v11, v0
	v_add_co_ci_u32_e64 v1, null, 0, v1, vcc_lo
	v_add_co_u32 v0, vcc_lo, v0, v7
	v_add_co_ci_u32_e32 v0, vcc_lo, v1, v8, vcc_lo
	v_add_co_ci_u32_e32 v1, vcc_lo, 0, v10, vcc_lo
	v_add_co_u32 v7, vcc_lo, v0, v9
	v_add_co_ci_u32_e64 v8, null, 0, v1, vcc_lo
	v_mul_lo_u32 v9, s9, v7
	v_mad_u64_u32 v[0:1], null, s8, v7, 0
	v_mul_lo_u32 v10, s8, v8
	v_sub_co_u32 v0, vcc_lo, v5, v0
	v_add3_u32 v1, v1, v10, v9
	v_sub_nc_u32_e32 v9, v6, v1
	v_sub_co_ci_u32_e64 v1, null, v6, v1, vcc_lo
	v_subrev_co_ci_u32_e64 v5, null, s9, v9, vcc_lo
	v_add_co_u32 v9, s0, v7, 2
	v_add_co_ci_u32_e64 v10, null, 0, v8, s0
	v_sub_co_u32 v11, s0, v0, s8
	v_subrev_co_ci_u32_e64 v5, null, 0, v5, s0
	v_cmp_eq_u32_e64 s0, s9, v1
	v_cmp_le_u32_e32 vcc_lo, s8, v11
	v_cndmask_b32_e64 v6, 0, -1, vcc_lo
	v_cmp_le_u32_e32 vcc_lo, s9, v5
	v_cndmask_b32_e64 v11, 0, -1, vcc_lo
	;; [unrolled: 2-line block ×4, first 2 shown]
	v_cmp_eq_u32_e32 vcc_lo, s9, v5
	v_cndmask_b32_e64 v0, v12, v0, s0
	v_cndmask_b32_e32 v5, v11, v6, vcc_lo
	v_add_co_u32 v6, vcc_lo, v7, 1
	v_add_co_ci_u32_e64 v11, null, 0, v8, vcc_lo
	v_cmp_ne_u32_e32 vcc_lo, 0, v5
	v_cndmask_b32_e32 v1, v11, v10, vcc_lo
	v_cndmask_b32_e32 v5, v6, v9, vcc_lo
	v_cmp_ne_u32_e32 vcc_lo, 0, v0
	v_cndmask_b32_e32 v1, v8, v1, vcc_lo
	v_cndmask_b32_e32 v0, v7, v5, vcc_lo
                                        ; implicit-def: $vgpr5
.LBB77_3:
	s_andn2_saveexec_b32 s0, s1
	s_cbranch_execz .LBB77_5
; %bb.4:
	v_cvt_f32_u32_e32 v0, s8
	s_sub_i32 s1, 0, s8
	v_rcp_iflag_f32_e32 v0, v0
	v_mul_f32_e32 v0, 0x4f7ffffe, v0
	v_cvt_u32_f32_e32 v0, v0
	v_mul_lo_u32 v1, s1, v0
	v_mul_hi_u32 v1, v0, v1
	v_add_nc_u32_e32 v0, v0, v1
	v_mul_hi_u32 v0, v5, v0
	v_mul_lo_u32 v1, v0, s8
	v_sub_nc_u32_e32 v1, v5, v1
	v_add_nc_u32_e32 v5, 1, v0
	v_subrev_nc_u32_e32 v6, s8, v1
	v_cmp_le_u32_e32 vcc_lo, s8, v1
	v_cndmask_b32_e32 v1, v1, v6, vcc_lo
	v_cndmask_b32_e32 v0, v0, v5, vcc_lo
	v_cmp_le_u32_e32 vcc_lo, s8, v1
	v_add_nc_u32_e32 v5, 1, v0
	v_mov_b32_e32 v1, 0
	v_cndmask_b32_e32 v0, v0, v5, vcc_lo
.LBB77_5:
	s_or_b32 exec_lo, exec_lo, s0
	s_load_dwordx2 s[4:5], s[4:5], 0x10
	v_add_co_u32 v0, vcc_lo, v0, v4
	v_add_co_ci_u32_e64 v1, null, 0, v1, vcc_lo
	s_mov_b32 s0, 0
	v_add_co_u32 v0, vcc_lo, v0, 1
	v_add_co_ci_u32_e64 v1, null, 0, v1, vcc_lo
	s_mov_b32 s1, exec_lo
                                        ; implicit-def: $vgpr4_vgpr5
	v_cmpx_lt_u64_e32 1, v[0:1]
	s_xor_b32 s1, exec_lo, s1
	s_cbranch_execnz .LBB77_8
; %bb.6:
	s_andn2_saveexec_b32 s1, s1
	s_cbranch_execnz .LBB77_11
.LBB77_7:
	s_or_b32 exec_lo, exec_lo, s1
	s_and_b32 exec_lo, exec_lo, s0
	s_cbranch_execnz .LBB77_12
	s_branch .LBB77_14
.LBB77_8:
	v_lshlrev_b64 v[6:7], 1, v[2:3]
	v_add_co_u32 v4, vcc_lo, v2, s8
	v_mov_b32_e32 v9, v1
	v_add_co_ci_u32_e64 v5, null, s9, v3, vcc_lo
	v_and_b32_e32 v8, -2, v0
	s_waitcnt lgkmcnt(0)
	v_add_co_u32 v10, vcc_lo, s4, v6
	v_add_co_ci_u32_e64 v11, null, s5, v7, vcc_lo
	v_mov_b32_e32 v13, v9
	v_mov_b32_e32 v7, v5
	;; [unrolled: 1-line block ×6, first 2 shown]
	s_lshl_b64 s[10:11], s[8:9], 1
	s_mov_b32 s14, s7
	s_mov_b32 s15, s7
	;; [unrolled: 1-line block ×6, first 2 shown]
	s_lshl_b64 s[12:13], s[8:9], 2
	s_mov_b32 s20, 0
.LBB77_9:                               ; =>This Inner Loop Header: Depth=1
	v_ffbh_u32_e32 v16, v5
	v_ffbh_u32_e32 v17, v7
	v_add_co_u32 v14, vcc_lo, v10, s10
	v_add_co_ci_u32_e64 v15, null, s11, v11, vcc_lo
	v_min_u32_e32 v18, 32, v16
	v_min_u32_e32 v20, 32, v17
	v_add_co_u32 v12, vcc_lo, v12, -2
	v_add_co_ci_u32_e64 v13, null, -1, v13, vcc_lo
	v_lshlrev_b64 v[16:17], v18, v[4:5]
	v_sub_nc_u32_e32 v21, 32, v18
	v_lshlrev_b64 v[18:19], v20, v[6:7]
	v_sub_nc_u32_e32 v20, 32, v20
	v_add_co_u32 v6, s0, v6, s18
	v_min_u32_e32 v16, 1, v16
	v_add_co_ci_u32_e64 v7, null, s19, v7, s0
	v_min_u32_e32 v18, 1, v18
	v_add_co_u32 v4, s0, v4, s10
	v_or_b32_e32 v16, v17, v16
	v_cmp_eq_u64_e32 vcc_lo, 0, v[12:13]
	v_or_b32_e32 v17, v19, v18
	v_add_co_ci_u32_e64 v5, null, s11, v5, s0
	v_cvt_f32_u32_e32 v16, v16
	v_cvt_f32_u32_e32 v17, v17
	s_or_b32 s20, vcc_lo, s20
	v_ldexp_f32 v16, v16, v21
	v_ldexp_f32 v17, v17, v20
	v_fma_mixlo_f16 v16, s14, v16, s16
	v_fma_mixlo_f16 v17, s15, v17, s17
	global_store_short v[10:11], v16, off
	v_add_co_u32 v10, s0, v10, s12
	v_add_co_ci_u32_e64 v11, null, s13, v11, s0
	global_store_short v[14:15], v17, off
	s_andn2_b32 exec_lo, exec_lo, s20
	s_cbranch_execnz .LBB77_9
; %bb.10:
	s_or_b32 exec_lo, exec_lo, s20
	v_mad_u64_u32 v[2:3], null, v8, s8, v[2:3]
	v_mul_lo_u32 v4, v8, s9
	v_mul_lo_u32 v5, v9, s8
	v_cmp_ne_u64_e32 vcc_lo, v[0:1], v[8:9]
	s_and_b32 s0, vcc_lo, exec_lo
	v_add3_u32 v3, v5, v3, v4
	v_mov_b32_e32 v4, s10
	v_mov_b32_e32 v5, s11
	s_andn2_saveexec_b32 s1, s1
	s_cbranch_execz .LBB77_7
.LBB77_11:
	s_lshl_b64 s[10:11], s[8:9], 1
	s_or_b32 s0, s0, exec_lo
	v_mov_b32_e32 v4, s10
	v_mov_b32_e32 v5, s11
	s_or_b32 exec_lo, exec_lo, s1
	s_and_b32 exec_lo, exec_lo, s0
	s_cbranch_execz .LBB77_14
.LBB77_12:
	v_lshlrev_b64 v[0:1], 1, v[2:3]
	s_mov_b32 s1, 0
	s_waitcnt lgkmcnt(0)
	v_add_co_u32 v0, vcc_lo, s4, v0
	v_add_co_ci_u32_e64 v1, null, s5, v1, vcc_lo
	.p2align	6
.LBB77_13:                              ; =>This Inner Loop Header: Depth=1
	v_ffbh_u32_e32 v6, v3
	v_min_u32_e32 v8, 32, v6
	v_lshlrev_b64 v[6:7], v8, v[2:3]
	v_sub_nc_u32_e32 v8, 32, v8
	v_add_co_u32 v2, vcc_lo, v2, s8
	v_add_co_ci_u32_e64 v3, null, s9, v3, vcc_lo
	v_min_u32_e32 v6, 1, v6
	v_cmp_le_i64_e32 vcc_lo, s[2:3], v[2:3]
	v_or_b32_e32 v6, v7, v6
	s_or_b32 s1, vcc_lo, s1
	v_cvt_f32_u32_e32 v6, v6
	v_ldexp_f32 v6, v6, v8
	v_fma_mixlo_f16 v6, s7, v6, s6
	global_store_short v[0:1], v6, off
	v_add_co_u32 v0, s0, v0, v4
	v_add_co_ci_u32_e64 v1, null, v1, v5, s0
	s_andn2_b32 exec_lo, exec_lo, s1
	s_cbranch_execnz .LBB77_13
.LBB77_14:
	s_endpgm
	.section	.rodata,"a",@progbits
	.p2align	6, 0x0
	.amdhsa_kernel _ZN12_GLOBAL__N_141elementwise_kernel_with_index_grid_strideIlZZZN2at6native15arange_cuda_outERKN3c106ScalarES6_S6_RNS1_6TensorEENKUlvE_clEvENKUlvE6_clEvEUllE_EEvT_T0_PN15function_traitsISD_E11result_typeE
		.amdhsa_group_segment_fixed_size 0
		.amdhsa_private_segment_fixed_size 0
		.amdhsa_kernarg_size 280
		.amdhsa_user_sgpr_count 6
		.amdhsa_user_sgpr_private_segment_buffer 1
		.amdhsa_user_sgpr_dispatch_ptr 0
		.amdhsa_user_sgpr_queue_ptr 0
		.amdhsa_user_sgpr_kernarg_segment_ptr 1
		.amdhsa_user_sgpr_dispatch_id 0
		.amdhsa_user_sgpr_flat_scratch_init 0
		.amdhsa_user_sgpr_private_segment_size 0
		.amdhsa_wavefront_size32 1
		.amdhsa_uses_dynamic_stack 0
		.amdhsa_system_sgpr_private_segment_wavefront_offset 0
		.amdhsa_system_sgpr_workgroup_id_x 1
		.amdhsa_system_sgpr_workgroup_id_y 0
		.amdhsa_system_sgpr_workgroup_id_z 0
		.amdhsa_system_sgpr_workgroup_info 0
		.amdhsa_system_vgpr_workitem_id 0
		.amdhsa_next_free_vgpr 22
		.amdhsa_next_free_sgpr 21
		.amdhsa_reserve_vcc 1
		.amdhsa_reserve_flat_scratch 0
		.amdhsa_float_round_mode_32 0
		.amdhsa_float_round_mode_16_64 0
		.amdhsa_float_denorm_mode_32 3
		.amdhsa_float_denorm_mode_16_64 3
		.amdhsa_dx10_clamp 1
		.amdhsa_ieee_mode 1
		.amdhsa_fp16_overflow 0
		.amdhsa_workgroup_processor_mode 1
		.amdhsa_memory_ordered 1
		.amdhsa_forward_progress 1
		.amdhsa_shared_vgpr_count 0
		.amdhsa_exception_fp_ieee_invalid_op 0
		.amdhsa_exception_fp_denorm_src 0
		.amdhsa_exception_fp_ieee_div_zero 0
		.amdhsa_exception_fp_ieee_overflow 0
		.amdhsa_exception_fp_ieee_underflow 0
		.amdhsa_exception_fp_ieee_inexact 0
		.amdhsa_exception_int_div_zero 0
	.end_amdhsa_kernel
	.section	.text._ZN12_GLOBAL__N_141elementwise_kernel_with_index_grid_strideIlZZZN2at6native15arange_cuda_outERKN3c106ScalarES6_S6_RNS1_6TensorEENKUlvE_clEvENKUlvE6_clEvEUllE_EEvT_T0_PN15function_traitsISD_E11result_typeE,"axG",@progbits,_ZN12_GLOBAL__N_141elementwise_kernel_with_index_grid_strideIlZZZN2at6native15arange_cuda_outERKN3c106ScalarES6_S6_RNS1_6TensorEENKUlvE_clEvENKUlvE6_clEvEUllE_EEvT_T0_PN15function_traitsISD_E11result_typeE,comdat
.Lfunc_end77:
	.size	_ZN12_GLOBAL__N_141elementwise_kernel_with_index_grid_strideIlZZZN2at6native15arange_cuda_outERKN3c106ScalarES6_S6_RNS1_6TensorEENKUlvE_clEvENKUlvE6_clEvEUllE_EEvT_T0_PN15function_traitsISD_E11result_typeE, .Lfunc_end77-_ZN12_GLOBAL__N_141elementwise_kernel_with_index_grid_strideIlZZZN2at6native15arange_cuda_outERKN3c106ScalarES6_S6_RNS1_6TensorEENKUlvE_clEvENKUlvE6_clEvEUllE_EEvT_T0_PN15function_traitsISD_E11result_typeE
                                        ; -- End function
	.set _ZN12_GLOBAL__N_141elementwise_kernel_with_index_grid_strideIlZZZN2at6native15arange_cuda_outERKN3c106ScalarES6_S6_RNS1_6TensorEENKUlvE_clEvENKUlvE6_clEvEUllE_EEvT_T0_PN15function_traitsISD_E11result_typeE.num_vgpr, 22
	.set _ZN12_GLOBAL__N_141elementwise_kernel_with_index_grid_strideIlZZZN2at6native15arange_cuda_outERKN3c106ScalarES6_S6_RNS1_6TensorEENKUlvE_clEvENKUlvE6_clEvEUllE_EEvT_T0_PN15function_traitsISD_E11result_typeE.num_agpr, 0
	.set _ZN12_GLOBAL__N_141elementwise_kernel_with_index_grid_strideIlZZZN2at6native15arange_cuda_outERKN3c106ScalarES6_S6_RNS1_6TensorEENKUlvE_clEvENKUlvE6_clEvEUllE_EEvT_T0_PN15function_traitsISD_E11result_typeE.numbered_sgpr, 21
	.set _ZN12_GLOBAL__N_141elementwise_kernel_with_index_grid_strideIlZZZN2at6native15arange_cuda_outERKN3c106ScalarES6_S6_RNS1_6TensorEENKUlvE_clEvENKUlvE6_clEvEUllE_EEvT_T0_PN15function_traitsISD_E11result_typeE.num_named_barrier, 0
	.set _ZN12_GLOBAL__N_141elementwise_kernel_with_index_grid_strideIlZZZN2at6native15arange_cuda_outERKN3c106ScalarES6_S6_RNS1_6TensorEENKUlvE_clEvENKUlvE6_clEvEUllE_EEvT_T0_PN15function_traitsISD_E11result_typeE.private_seg_size, 0
	.set _ZN12_GLOBAL__N_141elementwise_kernel_with_index_grid_strideIlZZZN2at6native15arange_cuda_outERKN3c106ScalarES6_S6_RNS1_6TensorEENKUlvE_clEvENKUlvE6_clEvEUllE_EEvT_T0_PN15function_traitsISD_E11result_typeE.uses_vcc, 1
	.set _ZN12_GLOBAL__N_141elementwise_kernel_with_index_grid_strideIlZZZN2at6native15arange_cuda_outERKN3c106ScalarES6_S6_RNS1_6TensorEENKUlvE_clEvENKUlvE6_clEvEUllE_EEvT_T0_PN15function_traitsISD_E11result_typeE.uses_flat_scratch, 0
	.set _ZN12_GLOBAL__N_141elementwise_kernel_with_index_grid_strideIlZZZN2at6native15arange_cuda_outERKN3c106ScalarES6_S6_RNS1_6TensorEENKUlvE_clEvENKUlvE6_clEvEUllE_EEvT_T0_PN15function_traitsISD_E11result_typeE.has_dyn_sized_stack, 0
	.set _ZN12_GLOBAL__N_141elementwise_kernel_with_index_grid_strideIlZZZN2at6native15arange_cuda_outERKN3c106ScalarES6_S6_RNS1_6TensorEENKUlvE_clEvENKUlvE6_clEvEUllE_EEvT_T0_PN15function_traitsISD_E11result_typeE.has_recursion, 0
	.set _ZN12_GLOBAL__N_141elementwise_kernel_with_index_grid_strideIlZZZN2at6native15arange_cuda_outERKN3c106ScalarES6_S6_RNS1_6TensorEENKUlvE_clEvENKUlvE6_clEvEUllE_EEvT_T0_PN15function_traitsISD_E11result_typeE.has_indirect_call, 0
	.section	.AMDGPU.csdata,"",@progbits
; Kernel info:
; codeLenInByte = 1516
; TotalNumSgprs: 23
; NumVgprs: 22
; ScratchSize: 0
; MemoryBound: 0
; FloatMode: 240
; IeeeMode: 1
; LDSByteSize: 0 bytes/workgroup (compile time only)
; SGPRBlocks: 0
; VGPRBlocks: 2
; NumSGPRsForWavesPerEU: 23
; NumVGPRsForWavesPerEU: 22
; Occupancy: 16
; WaveLimiterHint : 0
; COMPUTE_PGM_RSRC2:SCRATCH_EN: 0
; COMPUTE_PGM_RSRC2:USER_SGPR: 6
; COMPUTE_PGM_RSRC2:TRAP_HANDLER: 0
; COMPUTE_PGM_RSRC2:TGID_X_EN: 1
; COMPUTE_PGM_RSRC2:TGID_Y_EN: 0
; COMPUTE_PGM_RSRC2:TGID_Z_EN: 0
; COMPUTE_PGM_RSRC2:TIDIG_COMP_CNT: 0
	.section	.text._ZN12_GLOBAL__N_141elementwise_kernel_with_index_grid_strideIiZZZN2at6native15arange_cuda_outERKN3c106ScalarES6_S6_RNS1_6TensorEENKUlvE_clEvENKUlvE7_clEvEUllE_EEvT_T0_PN15function_traitsISD_E11result_typeE,"axG",@progbits,_ZN12_GLOBAL__N_141elementwise_kernel_with_index_grid_strideIiZZZN2at6native15arange_cuda_outERKN3c106ScalarES6_S6_RNS1_6TensorEENKUlvE_clEvENKUlvE7_clEvEUllE_EEvT_T0_PN15function_traitsISD_E11result_typeE,comdat
	.globl	_ZN12_GLOBAL__N_141elementwise_kernel_with_index_grid_strideIiZZZN2at6native15arange_cuda_outERKN3c106ScalarES6_S6_RNS1_6TensorEENKUlvE_clEvENKUlvE7_clEvEUllE_EEvT_T0_PN15function_traitsISD_E11result_typeE ; -- Begin function _ZN12_GLOBAL__N_141elementwise_kernel_with_index_grid_strideIiZZZN2at6native15arange_cuda_outERKN3c106ScalarES6_S6_RNS1_6TensorEENKUlvE_clEvENKUlvE7_clEvEUllE_EEvT_T0_PN15function_traitsISD_E11result_typeE
	.p2align	8
	.type	_ZN12_GLOBAL__N_141elementwise_kernel_with_index_grid_strideIiZZZN2at6native15arange_cuda_outERKN3c106ScalarES6_S6_RNS1_6TensorEENKUlvE_clEvENKUlvE7_clEvEUllE_EEvT_T0_PN15function_traitsISD_E11result_typeE,@function
_ZN12_GLOBAL__N_141elementwise_kernel_with_index_grid_strideIiZZZN2at6native15arange_cuda_outERKN3c106ScalarES6_S6_RNS1_6TensorEENKUlvE_clEvENKUlvE7_clEvEUllE_EEvT_T0_PN15function_traitsISD_E11result_typeE: ; @_ZN12_GLOBAL__N_141elementwise_kernel_with_index_grid_strideIiZZZN2at6native15arange_cuda_outERKN3c106ScalarES6_S6_RNS1_6TensorEENKUlvE_clEvENKUlvE7_clEvEUllE_EEvT_T0_PN15function_traitsISD_E11result_typeE
; %bb.0:
	s_clause 0x1
	s_load_dword s2, s[4:5], 0x24
	s_load_dwordx4 s[8:11], s[4:5], 0x0
	s_add_u32 s0, s4, 24
	s_addc_u32 s1, s5, 0
	s_waitcnt lgkmcnt(0)
	s_and_b32 s3, s2, 0xffff
	s_mov_b32 s2, exec_lo
	v_mad_u64_u32 v[1:2], null, s6, s3, v[0:1]
	v_cmpx_gt_i32_e64 s8, v1
	s_cbranch_execz .LBB78_8
; %bb.1:
	s_load_dword s0, s[0:1], 0x0
	s_load_dwordx2 s[4:5], s[4:5], 0x10
	s_waitcnt lgkmcnt(0)
	s_mul_i32 s2, s0, s3
	s_add_i32 s0, s6, s0
	v_cvt_f32_u32_e32 v2, s2
	s_sub_i32 s1, 0, s2
	s_mul_i32 s0, s0, s3
	s_mov_b32 s6, 0
	v_add_nc_u32_e32 v4, s0, v0
	v_rcp_iflag_f32_e32 v2, v2
	s_mov_b32 s3, exec_lo
	v_cmp_gt_i32_e32 vcc_lo, s8, v4
	v_max_i32_e32 v5, s8, v4
	v_add_co_ci_u32_e64 v0, null, s0, v0, vcc_lo
	v_mul_f32_e32 v2, 0x4f7ffffe, v2
	v_sub_nc_u32_e32 v0, v5, v0
	v_cvt_u32_f32_e32 v2, v2
	v_mul_lo_u32 v3, s1, v2
	v_mul_hi_u32 v3, v2, v3
	v_add_nc_u32_e32 v2, v2, v3
	v_mul_hi_u32 v2, v0, v2
	v_mul_lo_u32 v3, v2, s2
	v_sub_nc_u32_e32 v0, v0, v3
	v_add_nc_u32_e32 v3, 1, v2
	v_subrev_nc_u32_e32 v4, s2, v0
	v_cmp_le_u32_e64 s0, s2, v0
	v_cndmask_b32_e64 v2, v2, v3, s0
	v_cndmask_b32_e64 v0, v0, v4, s0
	v_add_nc_u32_e32 v3, 1, v2
	v_cmp_le_u32_e64 s0, s2, v0
	v_cndmask_b32_e64 v0, v2, v3, s0
	s_mov_b32 s0, -1
	v_add_co_ci_u32_e64 v0, null, 1, v0, vcc_lo
	v_cmpx_lt_u32_e32 1, v0
	s_cbranch_execz .LBB78_5
; %bb.2:
	v_add_nc_u32_e32 v2, s2, v1
	v_and_b32_e32 v4, -2, v0
	v_mov_b32_e32 v5, 1
	s_lshl_b32 s12, s2, 1
	s_mov_b32 s7, s10
	v_mov_b32_e32 v3, v2
	v_mov_b32_e32 v6, v4
	;; [unrolled: 1-line block ×3, first 2 shown]
	s_mov_b32 s11, s9
	s_mov_b32 s13, s9
	;; [unrolled: 1-line block ×3, first 2 shown]
.LBB78_3:                               ; =>This Inner Loop Header: Depth=1
	v_cvt_f32_i32_e32 v12, v2
	v_cvt_f32_i32_e32 v11, v3
	v_ashrrev_i32_e32 v10, 31, v2
	v_mov_b32_e32 v9, v2
	v_ashrrev_i32_e32 v8, 31, v3
	v_fma_f32 v12, s10, v12, s11
	v_fma_f32 v11, s7, v11, s13
	v_mov_b32_e32 v7, v3
	v_lshlrev_b64 v[9:10], 1, v[9:10]
	v_add_nc_u32_e32 v6, -2, v6
	v_and_b32_sdwa v14, v12, v5 dst_sel:DWORD dst_unused:UNUSED_PAD src0_sel:WORD_1 src1_sel:DWORD
	v_and_b32_sdwa v13, v11, v5 dst_sel:DWORD dst_unused:UNUSED_PAD src0_sel:WORD_1 src1_sel:DWORD
	v_lshlrev_b64 v[7:8], 1, v[7:8]
	v_cmp_o_f32_e64 s1, v12, v12
	v_add_co_u32 v9, s0, s4, v9
	v_add3_u32 v14, v12, v14, 0x7fff
	v_add3_u32 v13, v11, v13, 0x7fff
	v_add_co_ci_u32_e64 v10, null, s5, v10, s0
	v_add_co_u32 v7, s0, s4, v7
	v_lshrrev_b32_e32 v14, 16, v14
	v_lshrrev_b32_e32 v13, 16, v13
	v_add_co_ci_u32_e64 v8, null, s5, v8, s0
	v_cmp_o_f32_e64 s0, v11, v11
	v_cmp_eq_u32_e32 vcc_lo, 0, v6
	v_add_nc_u32_e32 v3, s14, v3
	v_cndmask_b32_e64 v11, 0x7fc0, v14, s1
	v_add_nc_u32_e32 v2, s12, v2
	v_cndmask_b32_e64 v12, 0x7fc0, v13, s0
	s_or_b32 s6, vcc_lo, s6
	global_store_short v[9:10], v11, off
	global_store_short v[7:8], v12, off
	s_andn2_b32 exec_lo, exec_lo, s6
	s_cbranch_execnz .LBB78_3
; %bb.4:
	s_or_b32 exec_lo, exec_lo, s6
	v_mad_u64_u32 v[1:2], null, v4, s2, v[1:2]
	v_cmp_ne_u32_e32 vcc_lo, v0, v4
	s_orn2_b32 s0, vcc_lo, exec_lo
.LBB78_5:
	s_or_b32 exec_lo, exec_lo, s3
	s_and_b32 exec_lo, exec_lo, s0
	s_cbranch_execz .LBB78_8
; %bb.6:
	v_ashrrev_i32_e32 v2, 31, v1
	v_mov_b32_e32 v0, 0x7fc0
	s_ashr_i32 s3, s2, 31
	s_mov_b32 s1, 0
	v_lshlrev_b64 v[2:3], 1, v[1:2]
	v_add_co_u32 v2, vcc_lo, s4, v2
	v_add_co_ci_u32_e64 v3, null, s5, v3, vcc_lo
	s_lshl_b64 s[4:5], s[2:3], 1
	.p2align	6
.LBB78_7:                               ; =>This Inner Loop Header: Depth=1
	v_cvt_f32_i32_e32 v4, v1
	v_add_nc_u32_e32 v1, s2, v1
	v_fma_f32 v4, s10, v4, s9
	v_cmp_le_i32_e64 s0, s8, v1
	v_bfe_u32 v5, v4, 16, 1
	v_cmp_o_f32_e32 vcc_lo, v4, v4
	s_or_b32 s1, s0, s1
	v_add3_u32 v4, v4, v5, 0x7fff
	v_cndmask_b32_sdwa v4, v0, v4, vcc_lo dst_sel:DWORD dst_unused:UNUSED_PAD src0_sel:DWORD src1_sel:WORD_1
	global_store_short v[2:3], v4, off
	v_add_co_u32 v2, vcc_lo, v2, s4
	v_add_co_ci_u32_e64 v3, null, s5, v3, vcc_lo
	s_andn2_b32 exec_lo, exec_lo, s1
	s_cbranch_execnz .LBB78_7
.LBB78_8:
	s_endpgm
	.section	.rodata,"a",@progbits
	.p2align	6, 0x0
	.amdhsa_kernel _ZN12_GLOBAL__N_141elementwise_kernel_with_index_grid_strideIiZZZN2at6native15arange_cuda_outERKN3c106ScalarES6_S6_RNS1_6TensorEENKUlvE_clEvENKUlvE7_clEvEUllE_EEvT_T0_PN15function_traitsISD_E11result_typeE
		.amdhsa_group_segment_fixed_size 0
		.amdhsa_private_segment_fixed_size 0
		.amdhsa_kernarg_size 280
		.amdhsa_user_sgpr_count 6
		.amdhsa_user_sgpr_private_segment_buffer 1
		.amdhsa_user_sgpr_dispatch_ptr 0
		.amdhsa_user_sgpr_queue_ptr 0
		.amdhsa_user_sgpr_kernarg_segment_ptr 1
		.amdhsa_user_sgpr_dispatch_id 0
		.amdhsa_user_sgpr_flat_scratch_init 0
		.amdhsa_user_sgpr_private_segment_size 0
		.amdhsa_wavefront_size32 1
		.amdhsa_uses_dynamic_stack 0
		.amdhsa_system_sgpr_private_segment_wavefront_offset 0
		.amdhsa_system_sgpr_workgroup_id_x 1
		.amdhsa_system_sgpr_workgroup_id_y 0
		.amdhsa_system_sgpr_workgroup_id_z 0
		.amdhsa_system_sgpr_workgroup_info 0
		.amdhsa_system_vgpr_workitem_id 0
		.amdhsa_next_free_vgpr 15
		.amdhsa_next_free_sgpr 15
		.amdhsa_reserve_vcc 1
		.amdhsa_reserve_flat_scratch 0
		.amdhsa_float_round_mode_32 0
		.amdhsa_float_round_mode_16_64 0
		.amdhsa_float_denorm_mode_32 3
		.amdhsa_float_denorm_mode_16_64 3
		.amdhsa_dx10_clamp 1
		.amdhsa_ieee_mode 1
		.amdhsa_fp16_overflow 0
		.amdhsa_workgroup_processor_mode 1
		.amdhsa_memory_ordered 1
		.amdhsa_forward_progress 1
		.amdhsa_shared_vgpr_count 0
		.amdhsa_exception_fp_ieee_invalid_op 0
		.amdhsa_exception_fp_denorm_src 0
		.amdhsa_exception_fp_ieee_div_zero 0
		.amdhsa_exception_fp_ieee_overflow 0
		.amdhsa_exception_fp_ieee_underflow 0
		.amdhsa_exception_fp_ieee_inexact 0
		.amdhsa_exception_int_div_zero 0
	.end_amdhsa_kernel
	.section	.text._ZN12_GLOBAL__N_141elementwise_kernel_with_index_grid_strideIiZZZN2at6native15arange_cuda_outERKN3c106ScalarES6_S6_RNS1_6TensorEENKUlvE_clEvENKUlvE7_clEvEUllE_EEvT_T0_PN15function_traitsISD_E11result_typeE,"axG",@progbits,_ZN12_GLOBAL__N_141elementwise_kernel_with_index_grid_strideIiZZZN2at6native15arange_cuda_outERKN3c106ScalarES6_S6_RNS1_6TensorEENKUlvE_clEvENKUlvE7_clEvEUllE_EEvT_T0_PN15function_traitsISD_E11result_typeE,comdat
.Lfunc_end78:
	.size	_ZN12_GLOBAL__N_141elementwise_kernel_with_index_grid_strideIiZZZN2at6native15arange_cuda_outERKN3c106ScalarES6_S6_RNS1_6TensorEENKUlvE_clEvENKUlvE7_clEvEUllE_EEvT_T0_PN15function_traitsISD_E11result_typeE, .Lfunc_end78-_ZN12_GLOBAL__N_141elementwise_kernel_with_index_grid_strideIiZZZN2at6native15arange_cuda_outERKN3c106ScalarES6_S6_RNS1_6TensorEENKUlvE_clEvENKUlvE7_clEvEUllE_EEvT_T0_PN15function_traitsISD_E11result_typeE
                                        ; -- End function
	.set _ZN12_GLOBAL__N_141elementwise_kernel_with_index_grid_strideIiZZZN2at6native15arange_cuda_outERKN3c106ScalarES6_S6_RNS1_6TensorEENKUlvE_clEvENKUlvE7_clEvEUllE_EEvT_T0_PN15function_traitsISD_E11result_typeE.num_vgpr, 15
	.set _ZN12_GLOBAL__N_141elementwise_kernel_with_index_grid_strideIiZZZN2at6native15arange_cuda_outERKN3c106ScalarES6_S6_RNS1_6TensorEENKUlvE_clEvENKUlvE7_clEvEUllE_EEvT_T0_PN15function_traitsISD_E11result_typeE.num_agpr, 0
	.set _ZN12_GLOBAL__N_141elementwise_kernel_with_index_grid_strideIiZZZN2at6native15arange_cuda_outERKN3c106ScalarES6_S6_RNS1_6TensorEENKUlvE_clEvENKUlvE7_clEvEUllE_EEvT_T0_PN15function_traitsISD_E11result_typeE.numbered_sgpr, 15
	.set _ZN12_GLOBAL__N_141elementwise_kernel_with_index_grid_strideIiZZZN2at6native15arange_cuda_outERKN3c106ScalarES6_S6_RNS1_6TensorEENKUlvE_clEvENKUlvE7_clEvEUllE_EEvT_T0_PN15function_traitsISD_E11result_typeE.num_named_barrier, 0
	.set _ZN12_GLOBAL__N_141elementwise_kernel_with_index_grid_strideIiZZZN2at6native15arange_cuda_outERKN3c106ScalarES6_S6_RNS1_6TensorEENKUlvE_clEvENKUlvE7_clEvEUllE_EEvT_T0_PN15function_traitsISD_E11result_typeE.private_seg_size, 0
	.set _ZN12_GLOBAL__N_141elementwise_kernel_with_index_grid_strideIiZZZN2at6native15arange_cuda_outERKN3c106ScalarES6_S6_RNS1_6TensorEENKUlvE_clEvENKUlvE7_clEvEUllE_EEvT_T0_PN15function_traitsISD_E11result_typeE.uses_vcc, 1
	.set _ZN12_GLOBAL__N_141elementwise_kernel_with_index_grid_strideIiZZZN2at6native15arange_cuda_outERKN3c106ScalarES6_S6_RNS1_6TensorEENKUlvE_clEvENKUlvE7_clEvEUllE_EEvT_T0_PN15function_traitsISD_E11result_typeE.uses_flat_scratch, 0
	.set _ZN12_GLOBAL__N_141elementwise_kernel_with_index_grid_strideIiZZZN2at6native15arange_cuda_outERKN3c106ScalarES6_S6_RNS1_6TensorEENKUlvE_clEvENKUlvE7_clEvEUllE_EEvT_T0_PN15function_traitsISD_E11result_typeE.has_dyn_sized_stack, 0
	.set _ZN12_GLOBAL__N_141elementwise_kernel_with_index_grid_strideIiZZZN2at6native15arange_cuda_outERKN3c106ScalarES6_S6_RNS1_6TensorEENKUlvE_clEvENKUlvE7_clEvEUllE_EEvT_T0_PN15function_traitsISD_E11result_typeE.has_recursion, 0
	.set _ZN12_GLOBAL__N_141elementwise_kernel_with_index_grid_strideIiZZZN2at6native15arange_cuda_outERKN3c106ScalarES6_S6_RNS1_6TensorEENKUlvE_clEvENKUlvE7_clEvEUllE_EEvT_T0_PN15function_traitsISD_E11result_typeE.has_indirect_call, 0
	.section	.AMDGPU.csdata,"",@progbits
; Kernel info:
; codeLenInByte = 736
; TotalNumSgprs: 17
; NumVgprs: 15
; ScratchSize: 0
; MemoryBound: 0
; FloatMode: 240
; IeeeMode: 1
; LDSByteSize: 0 bytes/workgroup (compile time only)
; SGPRBlocks: 0
; VGPRBlocks: 1
; NumSGPRsForWavesPerEU: 17
; NumVGPRsForWavesPerEU: 15
; Occupancy: 16
; WaveLimiterHint : 0
; COMPUTE_PGM_RSRC2:SCRATCH_EN: 0
; COMPUTE_PGM_RSRC2:USER_SGPR: 6
; COMPUTE_PGM_RSRC2:TRAP_HANDLER: 0
; COMPUTE_PGM_RSRC2:TGID_X_EN: 1
; COMPUTE_PGM_RSRC2:TGID_Y_EN: 0
; COMPUTE_PGM_RSRC2:TGID_Z_EN: 0
; COMPUTE_PGM_RSRC2:TIDIG_COMP_CNT: 0
	.section	.text._ZN12_GLOBAL__N_141elementwise_kernel_with_index_grid_strideIlZZZN2at6native15arange_cuda_outERKN3c106ScalarES6_S6_RNS1_6TensorEENKUlvE_clEvENKUlvE7_clEvEUllE_EEvT_T0_PN15function_traitsISD_E11result_typeE,"axG",@progbits,_ZN12_GLOBAL__N_141elementwise_kernel_with_index_grid_strideIlZZZN2at6native15arange_cuda_outERKN3c106ScalarES6_S6_RNS1_6TensorEENKUlvE_clEvENKUlvE7_clEvEUllE_EEvT_T0_PN15function_traitsISD_E11result_typeE,comdat
	.globl	_ZN12_GLOBAL__N_141elementwise_kernel_with_index_grid_strideIlZZZN2at6native15arange_cuda_outERKN3c106ScalarES6_S6_RNS1_6TensorEENKUlvE_clEvENKUlvE7_clEvEUllE_EEvT_T0_PN15function_traitsISD_E11result_typeE ; -- Begin function _ZN12_GLOBAL__N_141elementwise_kernel_with_index_grid_strideIlZZZN2at6native15arange_cuda_outERKN3c106ScalarES6_S6_RNS1_6TensorEENKUlvE_clEvENKUlvE7_clEvEUllE_EEvT_T0_PN15function_traitsISD_E11result_typeE
	.p2align	8
	.type	_ZN12_GLOBAL__N_141elementwise_kernel_with_index_grid_strideIlZZZN2at6native15arange_cuda_outERKN3c106ScalarES6_S6_RNS1_6TensorEENKUlvE_clEvENKUlvE7_clEvEUllE_EEvT_T0_PN15function_traitsISD_E11result_typeE,@function
_ZN12_GLOBAL__N_141elementwise_kernel_with_index_grid_strideIlZZZN2at6native15arange_cuda_outERKN3c106ScalarES6_S6_RNS1_6TensorEENKUlvE_clEvENKUlvE7_clEvEUllE_EEvT_T0_PN15function_traitsISD_E11result_typeE: ; @_ZN12_GLOBAL__N_141elementwise_kernel_with_index_grid_strideIlZZZN2at6native15arange_cuda_outERKN3c106ScalarES6_S6_RNS1_6TensorEENKUlvE_clEvENKUlvE7_clEvEUllE_EEvT_T0_PN15function_traitsISD_E11result_typeE
; %bb.0:
	s_clause 0x1
	s_load_dword s7, s[4:5], 0x24
	s_load_dwordx2 s[2:3], s[4:5], 0x0
	v_mov_b32_e32 v1, 0
	s_add_u32 s0, s4, 24
	s_addc_u32 s1, s5, 0
	s_waitcnt lgkmcnt(0)
	s_and_b32 s8, s7, 0xffff
	s_mov_b32 s7, exec_lo
	v_mad_u64_u32 v[2:3], null, s8, s6, v[0:1]
	v_cmpx_gt_i64_e64 s[2:3], v[2:3]
	s_cbranch_execz .LBB79_14
; %bb.1:
	s_load_dword s0, s[0:1], 0x0
	s_waitcnt lgkmcnt(0)
	s_add_u32 s1, s6, s0
	s_load_dwordx2 s[6:7], s[4:5], 0x8
	v_mad_u64_u32 v[5:6], null, s1, s8, v[0:1]
	s_addc_u32 s1, 0, 0
	s_mul_hi_u32 s9, s8, s0
	v_mov_b32_e32 v0, v6
	v_mad_u64_u32 v[7:8], null, s1, s8, v[0:1]
	s_mul_i32 s8, s8, s0
	s_mov_b32 s0, exec_lo
	v_mov_b32_e32 v6, v7
	v_cmp_gt_i64_e32 vcc_lo, s[2:3], v[5:6]
	v_cndmask_b32_e64 v4, 0, 1, vcc_lo
	v_cndmask_b32_e64 v0, v7, s3, vcc_lo
	;; [unrolled: 1-line block ×3, first 2 shown]
	v_add_co_u32 v5, vcc_lo, v5, v4
	v_add_co_ci_u32_e64 v7, null, 0, v7, vcc_lo
	v_sub_co_u32 v5, vcc_lo, v6, v5
	v_sub_co_ci_u32_e64 v6, null, v0, v7, vcc_lo
	v_mov_b32_e32 v7, v1
                                        ; implicit-def: $vgpr0_vgpr1
	v_or_b32_e32 v8, s9, v6
	v_cmpx_ne_u64_e32 0, v[7:8]
	s_xor_b32 s1, exec_lo, s0
	s_cbranch_execz .LBB79_3
; %bb.2:
	v_cvt_f32_u32_e32 v0, s8
	v_cvt_f32_u32_e32 v1, s9
	s_sub_u32 s11, 0, s8
	s_subb_u32 s12, 0, s9
	v_fmamk_f32 v0, v1, 0x4f800000, v0
	v_rcp_f32_e32 v0, v0
	v_mul_f32_e32 v0, 0x5f7ffffc, v0
	v_mul_f32_e32 v1, 0x2f800000, v0
	v_trunc_f32_e32 v1, v1
	v_fmamk_f32 v0, v1, 0xcf800000, v0
	v_cvt_u32_f32_e32 v1, v1
	v_cvt_u32_f32_e32 v0, v0
	v_readfirstlane_b32 s0, v1
	v_readfirstlane_b32 s10, v0
	s_mul_i32 s13, s11, s0
	s_mul_hi_u32 s15, s11, s10
	s_mul_i32 s14, s12, s10
	s_add_i32 s13, s15, s13
	s_mul_i32 s16, s11, s10
	s_add_i32 s13, s13, s14
	s_mul_hi_u32 s15, s10, s16
	s_mul_i32 s18, s10, s13
	s_mul_hi_u32 s17, s0, s16
	s_mul_i32 s14, s0, s16
	s_mul_hi_u32 s16, s10, s13
	s_add_u32 s15, s15, s18
	s_addc_u32 s16, 0, s16
	s_mul_hi_u32 s19, s0, s13
	s_add_u32 s14, s15, s14
	s_mul_i32 s13, s0, s13
	s_addc_u32 s14, s16, s17
	s_addc_u32 s15, s19, 0
	s_add_u32 s13, s14, s13
	s_addc_u32 s14, 0, s15
	s_add_u32 s10, s10, s13
	s_cselect_b32 s13, -1, 0
	s_mul_hi_u32 s15, s11, s10
	s_cmp_lg_u32 s13, 0
	s_mul_i32 s13, s11, s10
	s_addc_u32 s0, s0, s14
	s_mul_i32 s12, s12, s10
	s_mul_i32 s11, s11, s0
	s_mul_hi_u32 s14, s10, s13
	s_add_i32 s11, s15, s11
	s_mul_hi_u32 s15, s0, s13
	s_add_i32 s11, s11, s12
	s_mul_i32 s12, s0, s13
	s_mul_i32 s17, s10, s11
	s_mul_hi_u32 s16, s10, s11
	s_add_u32 s14, s14, s17
	s_addc_u32 s16, 0, s16
	s_mul_hi_u32 s13, s0, s11
	s_add_u32 s12, s14, s12
	s_mul_i32 s11, s0, s11
	s_addc_u32 s12, s16, s15
	s_addc_u32 s13, s13, 0
	s_add_u32 s11, s12, s11
	s_addc_u32 s12, 0, s13
	s_add_u32 s10, s10, s11
	s_cselect_b32 s11, -1, 0
	v_mul_hi_u32 v11, v5, s10
	s_cmp_lg_u32 s11, 0
	v_mad_u64_u32 v[7:8], null, v6, s10, 0
	s_addc_u32 s0, s0, s12
	v_mad_u64_u32 v[0:1], null, v5, s0, 0
	v_mad_u64_u32 v[9:10], null, v6, s0, 0
	v_add_co_u32 v0, vcc_lo, v11, v0
	v_add_co_ci_u32_e64 v1, null, 0, v1, vcc_lo
	v_add_co_u32 v0, vcc_lo, v0, v7
	v_add_co_ci_u32_e32 v0, vcc_lo, v1, v8, vcc_lo
	v_add_co_ci_u32_e32 v1, vcc_lo, 0, v10, vcc_lo
	v_add_co_u32 v7, vcc_lo, v0, v9
	v_add_co_ci_u32_e64 v8, null, 0, v1, vcc_lo
	v_mul_lo_u32 v9, s9, v7
	v_mad_u64_u32 v[0:1], null, s8, v7, 0
	v_mul_lo_u32 v10, s8, v8
	v_sub_co_u32 v0, vcc_lo, v5, v0
	v_add3_u32 v1, v1, v10, v9
	v_sub_nc_u32_e32 v9, v6, v1
	v_sub_co_ci_u32_e64 v1, null, v6, v1, vcc_lo
	v_subrev_co_ci_u32_e64 v5, null, s9, v9, vcc_lo
	v_add_co_u32 v9, s0, v7, 2
	v_add_co_ci_u32_e64 v10, null, 0, v8, s0
	v_sub_co_u32 v11, s0, v0, s8
	v_subrev_co_ci_u32_e64 v5, null, 0, v5, s0
	v_cmp_eq_u32_e64 s0, s9, v1
	v_cmp_le_u32_e32 vcc_lo, s8, v11
	v_cndmask_b32_e64 v6, 0, -1, vcc_lo
	v_cmp_le_u32_e32 vcc_lo, s9, v5
	v_cndmask_b32_e64 v11, 0, -1, vcc_lo
	v_cmp_le_u32_e32 vcc_lo, s8, v0
	v_cndmask_b32_e64 v0, 0, -1, vcc_lo
	v_cmp_le_u32_e32 vcc_lo, s9, v1
	v_cndmask_b32_e64 v12, 0, -1, vcc_lo
	v_cmp_eq_u32_e32 vcc_lo, s9, v5
	v_cndmask_b32_e64 v0, v12, v0, s0
	v_cndmask_b32_e32 v5, v11, v6, vcc_lo
	v_add_co_u32 v6, vcc_lo, v7, 1
	v_add_co_ci_u32_e64 v11, null, 0, v8, vcc_lo
	v_cmp_ne_u32_e32 vcc_lo, 0, v5
	v_cndmask_b32_e32 v1, v11, v10, vcc_lo
	v_cndmask_b32_e32 v5, v6, v9, vcc_lo
	v_cmp_ne_u32_e32 vcc_lo, 0, v0
	v_cndmask_b32_e32 v1, v8, v1, vcc_lo
	v_cndmask_b32_e32 v0, v7, v5, vcc_lo
                                        ; implicit-def: $vgpr5
.LBB79_3:
	s_andn2_saveexec_b32 s0, s1
	s_cbranch_execz .LBB79_5
; %bb.4:
	v_cvt_f32_u32_e32 v0, s8
	s_sub_i32 s1, 0, s8
	v_rcp_iflag_f32_e32 v0, v0
	v_mul_f32_e32 v0, 0x4f7ffffe, v0
	v_cvt_u32_f32_e32 v0, v0
	v_mul_lo_u32 v1, s1, v0
	v_mul_hi_u32 v1, v0, v1
	v_add_nc_u32_e32 v0, v0, v1
	v_mul_hi_u32 v0, v5, v0
	v_mul_lo_u32 v1, v0, s8
	v_sub_nc_u32_e32 v1, v5, v1
	v_add_nc_u32_e32 v5, 1, v0
	v_subrev_nc_u32_e32 v6, s8, v1
	v_cmp_le_u32_e32 vcc_lo, s8, v1
	v_cndmask_b32_e32 v1, v1, v6, vcc_lo
	v_cndmask_b32_e32 v0, v0, v5, vcc_lo
	v_cmp_le_u32_e32 vcc_lo, s8, v1
	v_add_nc_u32_e32 v5, 1, v0
	v_mov_b32_e32 v1, 0
	v_cndmask_b32_e32 v0, v0, v5, vcc_lo
.LBB79_5:
	s_or_b32 exec_lo, exec_lo, s0
	s_load_dwordx2 s[4:5], s[4:5], 0x10
	v_add_co_u32 v0, vcc_lo, v0, v4
	v_add_co_ci_u32_e64 v1, null, 0, v1, vcc_lo
	s_mov_b32 s0, 0
	v_add_co_u32 v0, vcc_lo, v0, 1
	v_add_co_ci_u32_e64 v1, null, 0, v1, vcc_lo
                                        ; implicit-def: $vgpr4_vgpr5
	s_mov_b32 s1, exec_lo
	v_cmpx_lt_u64_e32 1, v[0:1]
	s_xor_b32 s14, exec_lo, s1
	s_cbranch_execnz .LBB79_8
; %bb.6:
	s_andn2_saveexec_b32 s1, s14
	s_cbranch_execnz .LBB79_11
.LBB79_7:
	s_or_b32 exec_lo, exec_lo, s1
	s_and_b32 exec_lo, exec_lo, s0
	s_cbranch_execnz .LBB79_12
	s_branch .LBB79_14
.LBB79_8:
	v_lshlrev_b64 v[6:7], 1, v[2:3]
	v_add_co_u32 v4, vcc_lo, v2, s8
	v_mov_b32_e32 v9, v1
	v_add_co_ci_u32_e64 v5, null, s9, v3, vcc_lo
	v_and_b32_e32 v8, -2, v0
	s_waitcnt lgkmcnt(0)
	v_add_co_u32 v10, vcc_lo, s4, v6
	v_add_co_ci_u32_e64 v11, null, s5, v7, vcc_lo
	v_mov_b32_e32 v13, v9
	v_mov_b32_e32 v7, v5
	v_mov_b32_e32 v14, 1
	v_mov_b32_e32 v12, v8
	v_mov_b32_e32 v6, v4
	v_mov_b32_e32 v5, v3
	v_mov_b32_e32 v4, v2
	s_lshl_b64 s[10:11], s[8:9], 1
	s_mov_b32 s15, s7
	s_mov_b32 s16, s7
	;; [unrolled: 1-line block ×6, first 2 shown]
	s_lshl_b64 s[12:13], s[8:9], 2
	s_mov_b32 s21, 0
.LBB79_9:                               ; =>This Inner Loop Header: Depth=1
	v_ffbh_u32_e32 v17, v7
	v_ffbh_u32_e32 v18, v5
	v_add_co_u32 v15, vcc_lo, v10, s10
	v_add_co_ci_u32_e64 v16, null, s11, v11, vcc_lo
	v_min_u32_e32 v19, 32, v17
	v_min_u32_e32 v21, 32, v18
	v_add_co_u32 v12, vcc_lo, v12, -2
	v_add_co_ci_u32_e64 v13, null, -1, v13, vcc_lo
	v_lshlrev_b64 v[17:18], v19, v[6:7]
	v_sub_nc_u32_e32 v22, 32, v19
	v_lshlrev_b64 v[19:20], v21, v[4:5]
	v_sub_nc_u32_e32 v21, 32, v21
	v_add_co_u32 v6, s0, v6, s19
	v_min_u32_e32 v17, 1, v17
	v_add_co_ci_u32_e64 v7, null, s20, v7, s0
	v_min_u32_e32 v19, 1, v19
	v_add_co_u32 v4, s0, v4, s10
	v_or_b32_e32 v17, v18, v17
	v_add_co_ci_u32_e64 v5, null, s11, v5, s0
	v_or_b32_e32 v19, v20, v19
	v_cmp_eq_u64_e32 vcc_lo, 0, v[12:13]
	v_cvt_f32_u32_e32 v17, v17
	v_cvt_f32_u32_e32 v18, v19
	v_ldexp_f32 v17, v17, v22
	s_or_b32 s21, vcc_lo, s21
	v_ldexp_f32 v18, v18, v21
	v_fma_f32 v17, s16, v17, s18
	v_fma_f32 v18, s15, v18, s17
	v_and_b32_sdwa v20, v17, v14 dst_sel:DWORD dst_unused:UNUSED_PAD src0_sel:WORD_1 src1_sel:DWORD
	v_cmp_o_f32_e64 s0, v17, v17
	v_and_b32_sdwa v19, v18, v14 dst_sel:DWORD dst_unused:UNUSED_PAD src0_sel:WORD_1 src1_sel:DWORD
	v_cmp_o_f32_e64 s1, v18, v18
	v_add3_u32 v20, v17, v20, 0x7fff
	v_add3_u32 v19, v18, v19, 0x7fff
	v_lshrrev_b32_e32 v20, 16, v20
	v_lshrrev_b32_e32 v19, 16, v19
	v_cndmask_b32_e64 v18, 0x7fc0, v20, s0
	v_cndmask_b32_e64 v17, 0x7fc0, v19, s1
	global_store_short v[10:11], v17, off
	v_add_co_u32 v10, s0, v10, s12
	v_add_co_ci_u32_e64 v11, null, s13, v11, s0
	global_store_short v[15:16], v18, off
	s_andn2_b32 exec_lo, exec_lo, s21
	s_cbranch_execnz .LBB79_9
; %bb.10:
	s_or_b32 exec_lo, exec_lo, s21
	v_mad_u64_u32 v[2:3], null, v8, s8, v[2:3]
	v_mul_lo_u32 v4, v8, s9
	v_mul_lo_u32 v5, v9, s8
	v_cmp_ne_u64_e32 vcc_lo, v[0:1], v[8:9]
	s_and_b32 s0, vcc_lo, exec_lo
	v_add3_u32 v3, v5, v3, v4
	v_mov_b32_e32 v4, s10
	v_mov_b32_e32 v5, s11
	s_andn2_saveexec_b32 s1, s14
	s_cbranch_execz .LBB79_7
.LBB79_11:
	s_lshl_b64 s[10:11], s[8:9], 1
	s_or_b32 s0, s0, exec_lo
	v_mov_b32_e32 v4, s10
	v_mov_b32_e32 v5, s11
	s_or_b32 exec_lo, exec_lo, s1
	s_and_b32 exec_lo, exec_lo, s0
	s_cbranch_execz .LBB79_14
.LBB79_12:
	v_lshlrev_b64 v[0:1], 1, v[2:3]
	s_mov_b32 s1, 0
	s_waitcnt lgkmcnt(0)
	v_add_co_u32 v0, vcc_lo, s4, v0
	v_add_co_ci_u32_e64 v1, null, s5, v1, vcc_lo
	s_inst_prefetch 0x1
	.p2align	6
.LBB79_13:                              ; =>This Inner Loop Header: Depth=1
	v_ffbh_u32_e32 v6, v3
	v_min_u32_e32 v8, 32, v6
	v_lshlrev_b64 v[6:7], v8, v[2:3]
	v_sub_nc_u32_e32 v8, 32, v8
	v_add_co_u32 v2, vcc_lo, v2, s8
	v_add_co_ci_u32_e64 v3, null, s9, v3, vcc_lo
	v_min_u32_e32 v6, 1, v6
	v_cmp_le_i64_e32 vcc_lo, s[2:3], v[2:3]
	v_or_b32_e32 v6, v7, v6
	s_or_b32 s1, vcc_lo, s1
	v_cvt_f32_u32_e32 v6, v6
	v_ldexp_f32 v6, v6, v8
	v_fma_f32 v6, s7, v6, s6
	v_bfe_u32 v7, v6, 16, 1
	v_cmp_o_f32_e64 s0, v6, v6
	v_add3_u32 v7, v6, v7, 0x7fff
	v_lshrrev_b32_e32 v7, 16, v7
	v_cndmask_b32_e64 v6, 0x7fc0, v7, s0
	global_store_short v[0:1], v6, off
	v_add_co_u32 v0, s0, v0, v4
	v_add_co_ci_u32_e64 v1, null, v1, v5, s0
	s_andn2_b32 exec_lo, exec_lo, s1
	s_cbranch_execnz .LBB79_13
.LBB79_14:
	s_inst_prefetch 0x2
	s_endpgm
	.section	.rodata,"a",@progbits
	.p2align	6, 0x0
	.amdhsa_kernel _ZN12_GLOBAL__N_141elementwise_kernel_with_index_grid_strideIlZZZN2at6native15arange_cuda_outERKN3c106ScalarES6_S6_RNS1_6TensorEENKUlvE_clEvENKUlvE7_clEvEUllE_EEvT_T0_PN15function_traitsISD_E11result_typeE
		.amdhsa_group_segment_fixed_size 0
		.amdhsa_private_segment_fixed_size 0
		.amdhsa_kernarg_size 280
		.amdhsa_user_sgpr_count 6
		.amdhsa_user_sgpr_private_segment_buffer 1
		.amdhsa_user_sgpr_dispatch_ptr 0
		.amdhsa_user_sgpr_queue_ptr 0
		.amdhsa_user_sgpr_kernarg_segment_ptr 1
		.amdhsa_user_sgpr_dispatch_id 0
		.amdhsa_user_sgpr_flat_scratch_init 0
		.amdhsa_user_sgpr_private_segment_size 0
		.amdhsa_wavefront_size32 1
		.amdhsa_uses_dynamic_stack 0
		.amdhsa_system_sgpr_private_segment_wavefront_offset 0
		.amdhsa_system_sgpr_workgroup_id_x 1
		.amdhsa_system_sgpr_workgroup_id_y 0
		.amdhsa_system_sgpr_workgroup_id_z 0
		.amdhsa_system_sgpr_workgroup_info 0
		.amdhsa_system_vgpr_workitem_id 0
		.amdhsa_next_free_vgpr 23
		.amdhsa_next_free_sgpr 22
		.amdhsa_reserve_vcc 1
		.amdhsa_reserve_flat_scratch 0
		.amdhsa_float_round_mode_32 0
		.amdhsa_float_round_mode_16_64 0
		.amdhsa_float_denorm_mode_32 3
		.amdhsa_float_denorm_mode_16_64 3
		.amdhsa_dx10_clamp 1
		.amdhsa_ieee_mode 1
		.amdhsa_fp16_overflow 0
		.amdhsa_workgroup_processor_mode 1
		.amdhsa_memory_ordered 1
		.amdhsa_forward_progress 1
		.amdhsa_shared_vgpr_count 0
		.amdhsa_exception_fp_ieee_invalid_op 0
		.amdhsa_exception_fp_denorm_src 0
		.amdhsa_exception_fp_ieee_div_zero 0
		.amdhsa_exception_fp_ieee_overflow 0
		.amdhsa_exception_fp_ieee_underflow 0
		.amdhsa_exception_fp_ieee_inexact 0
		.amdhsa_exception_int_div_zero 0
	.end_amdhsa_kernel
	.section	.text._ZN12_GLOBAL__N_141elementwise_kernel_with_index_grid_strideIlZZZN2at6native15arange_cuda_outERKN3c106ScalarES6_S6_RNS1_6TensorEENKUlvE_clEvENKUlvE7_clEvEUllE_EEvT_T0_PN15function_traitsISD_E11result_typeE,"axG",@progbits,_ZN12_GLOBAL__N_141elementwise_kernel_with_index_grid_strideIlZZZN2at6native15arange_cuda_outERKN3c106ScalarES6_S6_RNS1_6TensorEENKUlvE_clEvENKUlvE7_clEvEUllE_EEvT_T0_PN15function_traitsISD_E11result_typeE,comdat
.Lfunc_end79:
	.size	_ZN12_GLOBAL__N_141elementwise_kernel_with_index_grid_strideIlZZZN2at6native15arange_cuda_outERKN3c106ScalarES6_S6_RNS1_6TensorEENKUlvE_clEvENKUlvE7_clEvEUllE_EEvT_T0_PN15function_traitsISD_E11result_typeE, .Lfunc_end79-_ZN12_GLOBAL__N_141elementwise_kernel_with_index_grid_strideIlZZZN2at6native15arange_cuda_outERKN3c106ScalarES6_S6_RNS1_6TensorEENKUlvE_clEvENKUlvE7_clEvEUllE_EEvT_T0_PN15function_traitsISD_E11result_typeE
                                        ; -- End function
	.set _ZN12_GLOBAL__N_141elementwise_kernel_with_index_grid_strideIlZZZN2at6native15arange_cuda_outERKN3c106ScalarES6_S6_RNS1_6TensorEENKUlvE_clEvENKUlvE7_clEvEUllE_EEvT_T0_PN15function_traitsISD_E11result_typeE.num_vgpr, 23
	.set _ZN12_GLOBAL__N_141elementwise_kernel_with_index_grid_strideIlZZZN2at6native15arange_cuda_outERKN3c106ScalarES6_S6_RNS1_6TensorEENKUlvE_clEvENKUlvE7_clEvEUllE_EEvT_T0_PN15function_traitsISD_E11result_typeE.num_agpr, 0
	.set _ZN12_GLOBAL__N_141elementwise_kernel_with_index_grid_strideIlZZZN2at6native15arange_cuda_outERKN3c106ScalarES6_S6_RNS1_6TensorEENKUlvE_clEvENKUlvE7_clEvEUllE_EEvT_T0_PN15function_traitsISD_E11result_typeE.numbered_sgpr, 22
	.set _ZN12_GLOBAL__N_141elementwise_kernel_with_index_grid_strideIlZZZN2at6native15arange_cuda_outERKN3c106ScalarES6_S6_RNS1_6TensorEENKUlvE_clEvENKUlvE7_clEvEUllE_EEvT_T0_PN15function_traitsISD_E11result_typeE.num_named_barrier, 0
	.set _ZN12_GLOBAL__N_141elementwise_kernel_with_index_grid_strideIlZZZN2at6native15arange_cuda_outERKN3c106ScalarES6_S6_RNS1_6TensorEENKUlvE_clEvENKUlvE7_clEvEUllE_EEvT_T0_PN15function_traitsISD_E11result_typeE.private_seg_size, 0
	.set _ZN12_GLOBAL__N_141elementwise_kernel_with_index_grid_strideIlZZZN2at6native15arange_cuda_outERKN3c106ScalarES6_S6_RNS1_6TensorEENKUlvE_clEvENKUlvE7_clEvEUllE_EEvT_T0_PN15function_traitsISD_E11result_typeE.uses_vcc, 1
	.set _ZN12_GLOBAL__N_141elementwise_kernel_with_index_grid_strideIlZZZN2at6native15arange_cuda_outERKN3c106ScalarES6_S6_RNS1_6TensorEENKUlvE_clEvENKUlvE7_clEvEUllE_EEvT_T0_PN15function_traitsISD_E11result_typeE.uses_flat_scratch, 0
	.set _ZN12_GLOBAL__N_141elementwise_kernel_with_index_grid_strideIlZZZN2at6native15arange_cuda_outERKN3c106ScalarES6_S6_RNS1_6TensorEENKUlvE_clEvENKUlvE7_clEvEUllE_EEvT_T0_PN15function_traitsISD_E11result_typeE.has_dyn_sized_stack, 0
	.set _ZN12_GLOBAL__N_141elementwise_kernel_with_index_grid_strideIlZZZN2at6native15arange_cuda_outERKN3c106ScalarES6_S6_RNS1_6TensorEENKUlvE_clEvENKUlvE7_clEvEUllE_EEvT_T0_PN15function_traitsISD_E11result_typeE.has_recursion, 0
	.set _ZN12_GLOBAL__N_141elementwise_kernel_with_index_grid_strideIlZZZN2at6native15arange_cuda_outERKN3c106ScalarES6_S6_RNS1_6TensorEENKUlvE_clEvENKUlvE7_clEvEUllE_EEvT_T0_PN15function_traitsISD_E11result_typeE.has_indirect_call, 0
	.section	.AMDGPU.csdata,"",@progbits
; Kernel info:
; codeLenInByte = 1692
; TotalNumSgprs: 24
; NumVgprs: 23
; ScratchSize: 0
; MemoryBound: 0
; FloatMode: 240
; IeeeMode: 1
; LDSByteSize: 0 bytes/workgroup (compile time only)
; SGPRBlocks: 0
; VGPRBlocks: 2
; NumSGPRsForWavesPerEU: 24
; NumVGPRsForWavesPerEU: 23
; Occupancy: 16
; WaveLimiterHint : 0
; COMPUTE_PGM_RSRC2:SCRATCH_EN: 0
; COMPUTE_PGM_RSRC2:USER_SGPR: 6
; COMPUTE_PGM_RSRC2:TRAP_HANDLER: 0
; COMPUTE_PGM_RSRC2:TGID_X_EN: 1
; COMPUTE_PGM_RSRC2:TGID_Y_EN: 0
; COMPUTE_PGM_RSRC2:TGID_Z_EN: 0
; COMPUTE_PGM_RSRC2:TIDIG_COMP_CNT: 0
	.text
	.p2alignl 6, 3214868480
	.fill 48, 4, 3214868480
	.section	.AMDGPU.gpr_maximums,"",@progbits
	.set amdgpu.max_num_vgpr, 68
	.set amdgpu.max_num_agpr, 0
	.set amdgpu.max_num_sgpr, 32
	.text
	.type	__hip_cuid_89eb7a047cf00021,@object ; @__hip_cuid_89eb7a047cf00021
	.section	.bss,"aw",@nobits
	.globl	__hip_cuid_89eb7a047cf00021
__hip_cuid_89eb7a047cf00021:
	.byte	0                               ; 0x0
	.size	__hip_cuid_89eb7a047cf00021, 1

	.ident	"AMD clang version 22.0.0git (https://github.com/RadeonOpenCompute/llvm-project roc-7.2.4 26084 f58b06dce1f9c15707c5f808fd002e18c2accf7e)"
	.section	".note.GNU-stack","",@progbits
	.addrsig
	.addrsig_sym __hip_cuid_89eb7a047cf00021
	.amdgpu_metadata
---
amdhsa.kernels:
  - .args:
      - .offset:         0
        .size:           4
        .value_kind:     by_value
      - .offset:         8
        .size:           32
        .value_kind:     by_value
      - .address_space:  global
        .offset:         40
        .size:           8
        .value_kind:     global_buffer
      - .offset:         48
        .size:           4
        .value_kind:     hidden_block_count_x
      - .offset:         52
        .size:           4
        .value_kind:     hidden_block_count_y
      - .offset:         56
        .size:           4
        .value_kind:     hidden_block_count_z
      - .offset:         60
        .size:           2
        .value_kind:     hidden_group_size_x
      - .offset:         62
        .size:           2
        .value_kind:     hidden_group_size_y
      - .offset:         64
        .size:           2
        .value_kind:     hidden_group_size_z
      - .offset:         66
        .size:           2
        .value_kind:     hidden_remainder_x
      - .offset:         68
        .size:           2
        .value_kind:     hidden_remainder_y
      - .offset:         70
        .size:           2
        .value_kind:     hidden_remainder_z
      - .offset:         88
        .size:           8
        .value_kind:     hidden_global_offset_x
      - .offset:         96
        .size:           8
        .value_kind:     hidden_global_offset_y
      - .offset:         104
        .size:           8
        .value_kind:     hidden_global_offset_z
      - .offset:         112
        .size:           2
        .value_kind:     hidden_grid_dims
    .group_segment_fixed_size: 0
    .kernarg_segment_align: 8
    .kernarg_segment_size: 304
    .language:       OpenCL C
    .language_version:
      - 2
      - 0
    .max_flat_workgroup_size: 128
    .name:           _ZN12_GLOBAL__N_141elementwise_kernel_with_index_grid_strideIiZZZN2at6native17linspace_cuda_outERKN3c106ScalarES6_lRNS1_6TensorEENKUlvE_clEvENKUlvE_clEvEUllE_EEvT_T0_PN15function_traitsISD_E11result_typeE
    .private_segment_fixed_size: 0
    .sgpr_count:     41
    .sgpr_spill_count: 0
    .symbol:         _ZN12_GLOBAL__N_141elementwise_kernel_with_index_grid_strideIiZZZN2at6native17linspace_cuda_outERKN3c106ScalarES6_lRNS1_6TensorEENKUlvE_clEvENKUlvE_clEvEUllE_EEvT_T0_PN15function_traitsISD_E11result_typeE.kd
    .uniform_work_group_size: 1
    .uses_dynamic_stack: false
    .vgpr_count:     45
    .vgpr_spill_count: 0
    .wavefront_size: 32
    .workgroup_processor_mode: 1
  - .args:
      - .offset:         0
        .size:           8
        .value_kind:     by_value
      - .offset:         8
        .size:           32
        .value_kind:     by_value
      - .address_space:  global
        .offset:         40
        .size:           8
        .value_kind:     global_buffer
      - .offset:         48
        .size:           4
        .value_kind:     hidden_block_count_x
      - .offset:         52
        .size:           4
        .value_kind:     hidden_block_count_y
      - .offset:         56
        .size:           4
        .value_kind:     hidden_block_count_z
      - .offset:         60
        .size:           2
        .value_kind:     hidden_group_size_x
      - .offset:         62
        .size:           2
        .value_kind:     hidden_group_size_y
      - .offset:         64
        .size:           2
        .value_kind:     hidden_group_size_z
      - .offset:         66
        .size:           2
        .value_kind:     hidden_remainder_x
      - .offset:         68
        .size:           2
        .value_kind:     hidden_remainder_y
      - .offset:         70
        .size:           2
        .value_kind:     hidden_remainder_z
      - .offset:         88
        .size:           8
        .value_kind:     hidden_global_offset_x
      - .offset:         96
        .size:           8
        .value_kind:     hidden_global_offset_y
      - .offset:         104
        .size:           8
        .value_kind:     hidden_global_offset_z
      - .offset:         112
        .size:           2
        .value_kind:     hidden_grid_dims
    .group_segment_fixed_size: 0
    .kernarg_segment_align: 8
    .kernarg_segment_size: 304
    .language:       OpenCL C
    .language_version:
      - 2
      - 0
    .max_flat_workgroup_size: 128
    .name:           _ZN12_GLOBAL__N_141elementwise_kernel_with_index_grid_strideIlZZZN2at6native17linspace_cuda_outERKN3c106ScalarES6_lRNS1_6TensorEENKUlvE_clEvENKUlvE_clEvEUllE_EEvT_T0_PN15function_traitsISD_E11result_typeE
    .private_segment_fixed_size: 0
    .sgpr_count:     53
    .sgpr_spill_count: 0
    .symbol:         _ZN12_GLOBAL__N_141elementwise_kernel_with_index_grid_strideIlZZZN2at6native17linspace_cuda_outERKN3c106ScalarES6_lRNS1_6TensorEENKUlvE_clEvENKUlvE_clEvEUllE_EEvT_T0_PN15function_traitsISD_E11result_typeE.kd
    .uniform_work_group_size: 1
    .uses_dynamic_stack: false
    .vgpr_count:     56
    .vgpr_spill_count: 0
    .wavefront_size: 32
    .workgroup_processor_mode: 1
  - .args:
      - .offset:         0
        .size:           4
        .value_kind:     by_value
      - .offset:         8
        .size:           32
        .value_kind:     by_value
      - .address_space:  global
        .offset:         40
        .size:           8
        .value_kind:     global_buffer
      - .offset:         48
        .size:           4
        .value_kind:     hidden_block_count_x
      - .offset:         52
        .size:           4
        .value_kind:     hidden_block_count_y
      - .offset:         56
        .size:           4
        .value_kind:     hidden_block_count_z
      - .offset:         60
        .size:           2
        .value_kind:     hidden_group_size_x
      - .offset:         62
        .size:           2
        .value_kind:     hidden_group_size_y
      - .offset:         64
        .size:           2
        .value_kind:     hidden_group_size_z
      - .offset:         66
        .size:           2
        .value_kind:     hidden_remainder_x
      - .offset:         68
        .size:           2
        .value_kind:     hidden_remainder_y
      - .offset:         70
        .size:           2
        .value_kind:     hidden_remainder_z
      - .offset:         88
        .size:           8
        .value_kind:     hidden_global_offset_x
      - .offset:         96
        .size:           8
        .value_kind:     hidden_global_offset_y
      - .offset:         104
        .size:           8
        .value_kind:     hidden_global_offset_z
      - .offset:         112
        .size:           2
        .value_kind:     hidden_grid_dims
    .group_segment_fixed_size: 0
    .kernarg_segment_align: 8
    .kernarg_segment_size: 304
    .language:       OpenCL C
    .language_version:
      - 2
      - 0
    .max_flat_workgroup_size: 128
    .name:           _ZN12_GLOBAL__N_141elementwise_kernel_with_index_grid_strideIiZZZN2at6native17linspace_cuda_outERKN3c106ScalarES6_lRNS1_6TensorEENKUlvE_clEvENKUlvE0_clEvEUllE_EEvT_T0_PN15function_traitsISD_E11result_typeE
    .private_segment_fixed_size: 0
    .sgpr_count:     41
    .sgpr_spill_count: 0
    .symbol:         _ZN12_GLOBAL__N_141elementwise_kernel_with_index_grid_strideIiZZZN2at6native17linspace_cuda_outERKN3c106ScalarES6_lRNS1_6TensorEENKUlvE_clEvENKUlvE0_clEvEUllE_EEvT_T0_PN15function_traitsISD_E11result_typeE.kd
    .uniform_work_group_size: 1
    .uses_dynamic_stack: false
    .vgpr_count:     45
    .vgpr_spill_count: 0
    .wavefront_size: 32
    .workgroup_processor_mode: 1
  - .args:
      - .offset:         0
        .size:           8
        .value_kind:     by_value
      - .offset:         8
        .size:           32
        .value_kind:     by_value
      - .address_space:  global
        .offset:         40
        .size:           8
        .value_kind:     global_buffer
      - .offset:         48
        .size:           4
        .value_kind:     hidden_block_count_x
      - .offset:         52
        .size:           4
        .value_kind:     hidden_block_count_y
      - .offset:         56
        .size:           4
        .value_kind:     hidden_block_count_z
      - .offset:         60
        .size:           2
        .value_kind:     hidden_group_size_x
      - .offset:         62
        .size:           2
        .value_kind:     hidden_group_size_y
      - .offset:         64
        .size:           2
        .value_kind:     hidden_group_size_z
      - .offset:         66
        .size:           2
        .value_kind:     hidden_remainder_x
      - .offset:         68
        .size:           2
        .value_kind:     hidden_remainder_y
      - .offset:         70
        .size:           2
        .value_kind:     hidden_remainder_z
      - .offset:         88
        .size:           8
        .value_kind:     hidden_global_offset_x
      - .offset:         96
        .size:           8
        .value_kind:     hidden_global_offset_y
      - .offset:         104
        .size:           8
        .value_kind:     hidden_global_offset_z
      - .offset:         112
        .size:           2
        .value_kind:     hidden_grid_dims
    .group_segment_fixed_size: 0
    .kernarg_segment_align: 8
    .kernarg_segment_size: 304
    .language:       OpenCL C
    .language_version:
      - 2
      - 0
    .max_flat_workgroup_size: 128
    .name:           _ZN12_GLOBAL__N_141elementwise_kernel_with_index_grid_strideIlZZZN2at6native17linspace_cuda_outERKN3c106ScalarES6_lRNS1_6TensorEENKUlvE_clEvENKUlvE0_clEvEUllE_EEvT_T0_PN15function_traitsISD_E11result_typeE
    .private_segment_fixed_size: 0
    .sgpr_count:     53
    .sgpr_spill_count: 0
    .symbol:         _ZN12_GLOBAL__N_141elementwise_kernel_with_index_grid_strideIlZZZN2at6native17linspace_cuda_outERKN3c106ScalarES6_lRNS1_6TensorEENKUlvE_clEvENKUlvE0_clEvEUllE_EEvT_T0_PN15function_traitsISD_E11result_typeE.kd
    .uniform_work_group_size: 1
    .uses_dynamic_stack: false
    .vgpr_count:     56
    .vgpr_spill_count: 0
    .wavefront_size: 32
    .workgroup_processor_mode: 1
  - .args:
      - .offset:         0
        .size:           4
        .value_kind:     by_value
      - .offset:         8
        .size:           32
        .value_kind:     by_value
      - .address_space:  global
        .offset:         40
        .size:           8
        .value_kind:     global_buffer
      - .offset:         48
        .size:           4
        .value_kind:     hidden_block_count_x
      - .offset:         52
        .size:           4
        .value_kind:     hidden_block_count_y
      - .offset:         56
        .size:           4
        .value_kind:     hidden_block_count_z
      - .offset:         60
        .size:           2
        .value_kind:     hidden_group_size_x
      - .offset:         62
        .size:           2
        .value_kind:     hidden_group_size_y
      - .offset:         64
        .size:           2
        .value_kind:     hidden_group_size_z
      - .offset:         66
        .size:           2
        .value_kind:     hidden_remainder_x
      - .offset:         68
        .size:           2
        .value_kind:     hidden_remainder_y
      - .offset:         70
        .size:           2
        .value_kind:     hidden_remainder_z
      - .offset:         88
        .size:           8
        .value_kind:     hidden_global_offset_x
      - .offset:         96
        .size:           8
        .value_kind:     hidden_global_offset_y
      - .offset:         104
        .size:           8
        .value_kind:     hidden_global_offset_z
      - .offset:         112
        .size:           2
        .value_kind:     hidden_grid_dims
    .group_segment_fixed_size: 0
    .kernarg_segment_align: 8
    .kernarg_segment_size: 304
    .language:       OpenCL C
    .language_version:
      - 2
      - 0
    .max_flat_workgroup_size: 128
    .name:           _ZN12_GLOBAL__N_141elementwise_kernel_with_index_grid_strideIiZZZN2at6native17linspace_cuda_outERKN3c106ScalarES6_lRNS1_6TensorEENKUlvE_clEvENKUlvE1_clEvEUllE_EEvT_T0_PN15function_traitsISD_E11result_typeE
    .private_segment_fixed_size: 0
    .sgpr_count:     18
    .sgpr_spill_count: 0
    .symbol:         _ZN12_GLOBAL__N_141elementwise_kernel_with_index_grid_strideIiZZZN2at6native17linspace_cuda_outERKN3c106ScalarES6_lRNS1_6TensorEENKUlvE_clEvENKUlvE1_clEvEUllE_EEvT_T0_PN15function_traitsISD_E11result_typeE.kd
    .uniform_work_group_size: 1
    .uses_dynamic_stack: false
    .vgpr_count:     11
    .vgpr_spill_count: 0
    .wavefront_size: 32
    .workgroup_processor_mode: 1
  - .args:
      - .offset:         0
        .size:           8
        .value_kind:     by_value
      - .offset:         8
        .size:           32
        .value_kind:     by_value
      - .address_space:  global
        .offset:         40
        .size:           8
        .value_kind:     global_buffer
      - .offset:         48
        .size:           4
        .value_kind:     hidden_block_count_x
      - .offset:         52
        .size:           4
        .value_kind:     hidden_block_count_y
      - .offset:         56
        .size:           4
        .value_kind:     hidden_block_count_z
      - .offset:         60
        .size:           2
        .value_kind:     hidden_group_size_x
      - .offset:         62
        .size:           2
        .value_kind:     hidden_group_size_y
      - .offset:         64
        .size:           2
        .value_kind:     hidden_group_size_z
      - .offset:         66
        .size:           2
        .value_kind:     hidden_remainder_x
      - .offset:         68
        .size:           2
        .value_kind:     hidden_remainder_y
      - .offset:         70
        .size:           2
        .value_kind:     hidden_remainder_z
      - .offset:         88
        .size:           8
        .value_kind:     hidden_global_offset_x
      - .offset:         96
        .size:           8
        .value_kind:     hidden_global_offset_y
      - .offset:         104
        .size:           8
        .value_kind:     hidden_global_offset_z
      - .offset:         112
        .size:           2
        .value_kind:     hidden_grid_dims
    .group_segment_fixed_size: 0
    .kernarg_segment_align: 8
    .kernarg_segment_size: 304
    .language:       OpenCL C
    .language_version:
      - 2
      - 0
    .max_flat_workgroup_size: 128
    .name:           _ZN12_GLOBAL__N_141elementwise_kernel_with_index_grid_strideIlZZZN2at6native17linspace_cuda_outERKN3c106ScalarES6_lRNS1_6TensorEENKUlvE_clEvENKUlvE1_clEvEUllE_EEvT_T0_PN15function_traitsISD_E11result_typeE
    .private_segment_fixed_size: 0
    .sgpr_count:     18
    .sgpr_spill_count: 0
    .symbol:         _ZN12_GLOBAL__N_141elementwise_kernel_with_index_grid_strideIlZZZN2at6native17linspace_cuda_outERKN3c106ScalarES6_lRNS1_6TensorEENKUlvE_clEvENKUlvE1_clEvEUllE_EEvT_T0_PN15function_traitsISD_E11result_typeE.kd
    .uniform_work_group_size: 1
    .uses_dynamic_stack: false
    .vgpr_count:     11
    .vgpr_spill_count: 0
    .wavefront_size: 32
    .workgroup_processor_mode: 1
  - .args:
      - .offset:         0
        .size:           4
        .value_kind:     by_value
      - .offset:         8
        .size:           40
        .value_kind:     by_value
      - .address_space:  global
        .offset:         48
        .size:           8
        .value_kind:     global_buffer
      - .offset:         56
        .size:           4
        .value_kind:     hidden_block_count_x
      - .offset:         60
        .size:           4
        .value_kind:     hidden_block_count_y
      - .offset:         64
        .size:           4
        .value_kind:     hidden_block_count_z
      - .offset:         68
        .size:           2
        .value_kind:     hidden_group_size_x
      - .offset:         70
        .size:           2
        .value_kind:     hidden_group_size_y
      - .offset:         72
        .size:           2
        .value_kind:     hidden_group_size_z
      - .offset:         74
        .size:           2
        .value_kind:     hidden_remainder_x
      - .offset:         76
        .size:           2
        .value_kind:     hidden_remainder_y
      - .offset:         78
        .size:           2
        .value_kind:     hidden_remainder_z
      - .offset:         96
        .size:           8
        .value_kind:     hidden_global_offset_x
      - .offset:         104
        .size:           8
        .value_kind:     hidden_global_offset_y
      - .offset:         112
        .size:           8
        .value_kind:     hidden_global_offset_z
      - .offset:         120
        .size:           2
        .value_kind:     hidden_grid_dims
    .group_segment_fixed_size: 0
    .kernarg_segment_align: 8
    .kernarg_segment_size: 312
    .language:       OpenCL C
    .language_version:
      - 2
      - 0
    .max_flat_workgroup_size: 128
    .name:           _ZN12_GLOBAL__N_141elementwise_kernel_with_index_grid_strideIiZZZN2at6native17linspace_cuda_outERKN3c106ScalarES6_lRNS1_6TensorEENKUlvE_clEvENKUlvE2_clEvEUllE_EEvT_T0_PN15function_traitsISD_E11result_typeE
    .private_segment_fixed_size: 0
    .sgpr_count:     19
    .sgpr_spill_count: 0
    .symbol:         _ZN12_GLOBAL__N_141elementwise_kernel_with_index_grid_strideIiZZZN2at6native17linspace_cuda_outERKN3c106ScalarES6_lRNS1_6TensorEENKUlvE_clEvENKUlvE2_clEvEUllE_EEvT_T0_PN15function_traitsISD_E11result_typeE.kd
    .uniform_work_group_size: 1
    .uses_dynamic_stack: false
    .vgpr_count:     12
    .vgpr_spill_count: 0
    .wavefront_size: 32
    .workgroup_processor_mode: 1
  - .args:
      - .offset:         0
        .size:           8
        .value_kind:     by_value
      - .offset:         8
        .size:           40
        .value_kind:     by_value
      - .address_space:  global
        .offset:         48
        .size:           8
        .value_kind:     global_buffer
      - .offset:         56
        .size:           4
        .value_kind:     hidden_block_count_x
      - .offset:         60
        .size:           4
        .value_kind:     hidden_block_count_y
      - .offset:         64
        .size:           4
        .value_kind:     hidden_block_count_z
      - .offset:         68
        .size:           2
        .value_kind:     hidden_group_size_x
      - .offset:         70
        .size:           2
        .value_kind:     hidden_group_size_y
      - .offset:         72
        .size:           2
        .value_kind:     hidden_group_size_z
      - .offset:         74
        .size:           2
        .value_kind:     hidden_remainder_x
      - .offset:         76
        .size:           2
        .value_kind:     hidden_remainder_y
      - .offset:         78
        .size:           2
        .value_kind:     hidden_remainder_z
      - .offset:         96
        .size:           8
        .value_kind:     hidden_global_offset_x
      - .offset:         104
        .size:           8
        .value_kind:     hidden_global_offset_y
      - .offset:         112
        .size:           8
        .value_kind:     hidden_global_offset_z
      - .offset:         120
        .size:           2
        .value_kind:     hidden_grid_dims
    .group_segment_fixed_size: 0
    .kernarg_segment_align: 8
    .kernarg_segment_size: 312
    .language:       OpenCL C
    .language_version:
      - 2
      - 0
    .max_flat_workgroup_size: 128
    .name:           _ZN12_GLOBAL__N_141elementwise_kernel_with_index_grid_strideIlZZZN2at6native17linspace_cuda_outERKN3c106ScalarES6_lRNS1_6TensorEENKUlvE_clEvENKUlvE2_clEvEUllE_EEvT_T0_PN15function_traitsISD_E11result_typeE
    .private_segment_fixed_size: 0
    .sgpr_count:     22
    .sgpr_spill_count: 0
    .symbol:         _ZN12_GLOBAL__N_141elementwise_kernel_with_index_grid_strideIlZZZN2at6native17linspace_cuda_outERKN3c106ScalarES6_lRNS1_6TensorEENKUlvE_clEvENKUlvE2_clEvEUllE_EEvT_T0_PN15function_traitsISD_E11result_typeE.kd
    .uniform_work_group_size: 1
    .uses_dynamic_stack: false
    .vgpr_count:     12
    .vgpr_spill_count: 0
    .wavefront_size: 32
    .workgroup_processor_mode: 1
  - .args:
      - .offset:         0
        .size:           4
        .value_kind:     by_value
      - .offset:         8
        .size:           32
        .value_kind:     by_value
      - .address_space:  global
        .offset:         40
        .size:           8
        .value_kind:     global_buffer
      - .offset:         48
        .size:           4
        .value_kind:     hidden_block_count_x
      - .offset:         52
        .size:           4
        .value_kind:     hidden_block_count_y
      - .offset:         56
        .size:           4
        .value_kind:     hidden_block_count_z
      - .offset:         60
        .size:           2
        .value_kind:     hidden_group_size_x
      - .offset:         62
        .size:           2
        .value_kind:     hidden_group_size_y
      - .offset:         64
        .size:           2
        .value_kind:     hidden_group_size_z
      - .offset:         66
        .size:           2
        .value_kind:     hidden_remainder_x
      - .offset:         68
        .size:           2
        .value_kind:     hidden_remainder_y
      - .offset:         70
        .size:           2
        .value_kind:     hidden_remainder_z
      - .offset:         88
        .size:           8
        .value_kind:     hidden_global_offset_x
      - .offset:         96
        .size:           8
        .value_kind:     hidden_global_offset_y
      - .offset:         104
        .size:           8
        .value_kind:     hidden_global_offset_z
      - .offset:         112
        .size:           2
        .value_kind:     hidden_grid_dims
    .group_segment_fixed_size: 0
    .kernarg_segment_align: 8
    .kernarg_segment_size: 304
    .language:       OpenCL C
    .language_version:
      - 2
      - 0
    .max_flat_workgroup_size: 128
    .name:           _ZN12_GLOBAL__N_141elementwise_kernel_with_index_grid_strideIiZZZN2at6native17linspace_cuda_outERKN3c106ScalarES6_lRNS1_6TensorEENKUlvE_clEvENKUlvE3_clEvEUllE_EEvT_T0_PN15function_traitsISD_E11result_typeE
    .private_segment_fixed_size: 0
    .sgpr_count:     24
    .sgpr_spill_count: 0
    .symbol:         _ZN12_GLOBAL__N_141elementwise_kernel_with_index_grid_strideIiZZZN2at6native17linspace_cuda_outERKN3c106ScalarES6_lRNS1_6TensorEENKUlvE_clEvENKUlvE3_clEvEUllE_EEvT_T0_PN15function_traitsISD_E11result_typeE.kd
    .uniform_work_group_size: 1
    .uses_dynamic_stack: false
    .vgpr_count:     24
    .vgpr_spill_count: 0
    .wavefront_size: 32
    .workgroup_processor_mode: 1
  - .args:
      - .offset:         0
        .size:           8
        .value_kind:     by_value
      - .offset:         8
        .size:           32
        .value_kind:     by_value
      - .address_space:  global
        .offset:         40
        .size:           8
        .value_kind:     global_buffer
      - .offset:         48
        .size:           4
        .value_kind:     hidden_block_count_x
      - .offset:         52
        .size:           4
        .value_kind:     hidden_block_count_y
      - .offset:         56
        .size:           4
        .value_kind:     hidden_block_count_z
      - .offset:         60
        .size:           2
        .value_kind:     hidden_group_size_x
      - .offset:         62
        .size:           2
        .value_kind:     hidden_group_size_y
      - .offset:         64
        .size:           2
        .value_kind:     hidden_group_size_z
      - .offset:         66
        .size:           2
        .value_kind:     hidden_remainder_x
      - .offset:         68
        .size:           2
        .value_kind:     hidden_remainder_y
      - .offset:         70
        .size:           2
        .value_kind:     hidden_remainder_z
      - .offset:         88
        .size:           8
        .value_kind:     hidden_global_offset_x
      - .offset:         96
        .size:           8
        .value_kind:     hidden_global_offset_y
      - .offset:         104
        .size:           8
        .value_kind:     hidden_global_offset_z
      - .offset:         112
        .size:           2
        .value_kind:     hidden_grid_dims
    .group_segment_fixed_size: 0
    .kernarg_segment_align: 8
    .kernarg_segment_size: 304
    .language:       OpenCL C
    .language_version:
      - 2
      - 0
    .max_flat_workgroup_size: 128
    .name:           _ZN12_GLOBAL__N_141elementwise_kernel_with_index_grid_strideIlZZZN2at6native17linspace_cuda_outERKN3c106ScalarES6_lRNS1_6TensorEENKUlvE_clEvENKUlvE3_clEvEUllE_EEvT_T0_PN15function_traitsISD_E11result_typeE
    .private_segment_fixed_size: 0
    .sgpr_count:     31
    .sgpr_spill_count: 0
    .symbol:         _ZN12_GLOBAL__N_141elementwise_kernel_with_index_grid_strideIlZZZN2at6native17linspace_cuda_outERKN3c106ScalarES6_lRNS1_6TensorEENKUlvE_clEvENKUlvE3_clEvEUllE_EEvT_T0_PN15function_traitsISD_E11result_typeE.kd
    .uniform_work_group_size: 1
    .uses_dynamic_stack: false
    .vgpr_count:     32
    .vgpr_spill_count: 0
    .wavefront_size: 32
    .workgroup_processor_mode: 1
  - .args:
      - .offset:         0
        .size:           4
        .value_kind:     by_value
      - .offset:         8
        .size:           40
        .value_kind:     by_value
      - .address_space:  global
        .offset:         48
        .size:           8
        .value_kind:     global_buffer
      - .offset:         56
        .size:           4
        .value_kind:     hidden_block_count_x
      - .offset:         60
        .size:           4
        .value_kind:     hidden_block_count_y
      - .offset:         64
        .size:           4
        .value_kind:     hidden_block_count_z
      - .offset:         68
        .size:           2
        .value_kind:     hidden_group_size_x
      - .offset:         70
        .size:           2
        .value_kind:     hidden_group_size_y
      - .offset:         72
        .size:           2
        .value_kind:     hidden_group_size_z
      - .offset:         74
        .size:           2
        .value_kind:     hidden_remainder_x
      - .offset:         76
        .size:           2
        .value_kind:     hidden_remainder_y
      - .offset:         78
        .size:           2
        .value_kind:     hidden_remainder_z
      - .offset:         96
        .size:           8
        .value_kind:     hidden_global_offset_x
      - .offset:         104
        .size:           8
        .value_kind:     hidden_global_offset_y
      - .offset:         112
        .size:           8
        .value_kind:     hidden_global_offset_z
      - .offset:         120
        .size:           2
        .value_kind:     hidden_grid_dims
    .group_segment_fixed_size: 0
    .kernarg_segment_align: 8
    .kernarg_segment_size: 312
    .language:       OpenCL C
    .language_version:
      - 2
      - 0
    .max_flat_workgroup_size: 128
    .name:           _ZN12_GLOBAL__N_141elementwise_kernel_with_index_grid_strideIiZZZN2at6native17linspace_cuda_outERKN3c106ScalarES6_lRNS1_6TensorEENKUlvE0_clEvENKUlvE_clEvEUllE_EEvT_T0_PN15function_traitsISD_E11result_typeE
    .private_segment_fixed_size: 0
    .sgpr_count:     19
    .sgpr_spill_count: 0
    .symbol:         _ZN12_GLOBAL__N_141elementwise_kernel_with_index_grid_strideIiZZZN2at6native17linspace_cuda_outERKN3c106ScalarES6_lRNS1_6TensorEENKUlvE0_clEvENKUlvE_clEvEUllE_EEvT_T0_PN15function_traitsISD_E11result_typeE.kd
    .uniform_work_group_size: 1
    .uses_dynamic_stack: false
    .vgpr_count:     10
    .vgpr_spill_count: 0
    .wavefront_size: 32
    .workgroup_processor_mode: 1
  - .args:
      - .offset:         0
        .size:           8
        .value_kind:     by_value
      - .offset:         8
        .size:           40
        .value_kind:     by_value
      - .address_space:  global
        .offset:         48
        .size:           8
        .value_kind:     global_buffer
      - .offset:         56
        .size:           4
        .value_kind:     hidden_block_count_x
      - .offset:         60
        .size:           4
        .value_kind:     hidden_block_count_y
      - .offset:         64
        .size:           4
        .value_kind:     hidden_block_count_z
      - .offset:         68
        .size:           2
        .value_kind:     hidden_group_size_x
      - .offset:         70
        .size:           2
        .value_kind:     hidden_group_size_y
      - .offset:         72
        .size:           2
        .value_kind:     hidden_group_size_z
      - .offset:         74
        .size:           2
        .value_kind:     hidden_remainder_x
      - .offset:         76
        .size:           2
        .value_kind:     hidden_remainder_y
      - .offset:         78
        .size:           2
        .value_kind:     hidden_remainder_z
      - .offset:         96
        .size:           8
        .value_kind:     hidden_global_offset_x
      - .offset:         104
        .size:           8
        .value_kind:     hidden_global_offset_y
      - .offset:         112
        .size:           8
        .value_kind:     hidden_global_offset_z
      - .offset:         120
        .size:           2
        .value_kind:     hidden_grid_dims
    .group_segment_fixed_size: 0
    .kernarg_segment_align: 8
    .kernarg_segment_size: 312
    .language:       OpenCL C
    .language_version:
      - 2
      - 0
    .max_flat_workgroup_size: 128
    .name:           _ZN12_GLOBAL__N_141elementwise_kernel_with_index_grid_strideIlZZZN2at6native17linspace_cuda_outERKN3c106ScalarES6_lRNS1_6TensorEENKUlvE0_clEvENKUlvE_clEvEUllE_EEvT_T0_PN15function_traitsISD_E11result_typeE
    .private_segment_fixed_size: 0
    .sgpr_count:     26
    .sgpr_spill_count: 0
    .symbol:         _ZN12_GLOBAL__N_141elementwise_kernel_with_index_grid_strideIlZZZN2at6native17linspace_cuda_outERKN3c106ScalarES6_lRNS1_6TensorEENKUlvE0_clEvENKUlvE_clEvEUllE_EEvT_T0_PN15function_traitsISD_E11result_typeE.kd
    .uniform_work_group_size: 1
    .uses_dynamic_stack: false
    .vgpr_count:     10
    .vgpr_spill_count: 0
    .wavefront_size: 32
    .workgroup_processor_mode: 1
  - .args:
      - .offset:         0
        .size:           4
        .value_kind:     by_value
      - .offset:         8
        .size:           32
        .value_kind:     by_value
      - .address_space:  global
        .offset:         40
        .size:           8
        .value_kind:     global_buffer
      - .offset:         48
        .size:           4
        .value_kind:     hidden_block_count_x
      - .offset:         52
        .size:           4
        .value_kind:     hidden_block_count_y
      - .offset:         56
        .size:           4
        .value_kind:     hidden_block_count_z
      - .offset:         60
        .size:           2
        .value_kind:     hidden_group_size_x
      - .offset:         62
        .size:           2
        .value_kind:     hidden_group_size_y
      - .offset:         64
        .size:           2
        .value_kind:     hidden_group_size_z
      - .offset:         66
        .size:           2
        .value_kind:     hidden_remainder_x
      - .offset:         68
        .size:           2
        .value_kind:     hidden_remainder_y
      - .offset:         70
        .size:           2
        .value_kind:     hidden_remainder_z
      - .offset:         88
        .size:           8
        .value_kind:     hidden_global_offset_x
      - .offset:         96
        .size:           8
        .value_kind:     hidden_global_offset_y
      - .offset:         104
        .size:           8
        .value_kind:     hidden_global_offset_z
      - .offset:         112
        .size:           2
        .value_kind:     hidden_grid_dims
    .group_segment_fixed_size: 0
    .kernarg_segment_align: 8
    .kernarg_segment_size: 304
    .language:       OpenCL C
    .language_version:
      - 2
      - 0
    .max_flat_workgroup_size: 128
    .name:           _ZN12_GLOBAL__N_141elementwise_kernel_with_index_grid_strideIiZZZN2at6native17linspace_cuda_outERKN3c106ScalarES6_lRNS1_6TensorEENKUlvE0_clEvENKUlvE0_clEvEUllE_EEvT_T0_PN15function_traitsISD_E11result_typeE
    .private_segment_fixed_size: 0
    .sgpr_count:     18
    .sgpr_spill_count: 0
    .symbol:         _ZN12_GLOBAL__N_141elementwise_kernel_with_index_grid_strideIiZZZN2at6native17linspace_cuda_outERKN3c106ScalarES6_lRNS1_6TensorEENKUlvE0_clEvENKUlvE0_clEvEUllE_EEvT_T0_PN15function_traitsISD_E11result_typeE.kd
    .uniform_work_group_size: 1
    .uses_dynamic_stack: false
    .vgpr_count:     9
    .vgpr_spill_count: 0
    .wavefront_size: 32
    .workgroup_processor_mode: 1
  - .args:
      - .offset:         0
        .size:           8
        .value_kind:     by_value
      - .offset:         8
        .size:           32
        .value_kind:     by_value
      - .address_space:  global
        .offset:         40
        .size:           8
        .value_kind:     global_buffer
      - .offset:         48
        .size:           4
        .value_kind:     hidden_block_count_x
      - .offset:         52
        .size:           4
        .value_kind:     hidden_block_count_y
      - .offset:         56
        .size:           4
        .value_kind:     hidden_block_count_z
      - .offset:         60
        .size:           2
        .value_kind:     hidden_group_size_x
      - .offset:         62
        .size:           2
        .value_kind:     hidden_group_size_y
      - .offset:         64
        .size:           2
        .value_kind:     hidden_group_size_z
      - .offset:         66
        .size:           2
        .value_kind:     hidden_remainder_x
      - .offset:         68
        .size:           2
        .value_kind:     hidden_remainder_y
      - .offset:         70
        .size:           2
        .value_kind:     hidden_remainder_z
      - .offset:         88
        .size:           8
        .value_kind:     hidden_global_offset_x
      - .offset:         96
        .size:           8
        .value_kind:     hidden_global_offset_y
      - .offset:         104
        .size:           8
        .value_kind:     hidden_global_offset_z
      - .offset:         112
        .size:           2
        .value_kind:     hidden_grid_dims
    .group_segment_fixed_size: 0
    .kernarg_segment_align: 8
    .kernarg_segment_size: 304
    .language:       OpenCL C
    .language_version:
      - 2
      - 0
    .max_flat_workgroup_size: 128
    .name:           _ZN12_GLOBAL__N_141elementwise_kernel_with_index_grid_strideIlZZZN2at6native17linspace_cuda_outERKN3c106ScalarES6_lRNS1_6TensorEENKUlvE0_clEvENKUlvE0_clEvEUllE_EEvT_T0_PN15function_traitsISD_E11result_typeE
    .private_segment_fixed_size: 0
    .sgpr_count:     18
    .sgpr_spill_count: 0
    .symbol:         _ZN12_GLOBAL__N_141elementwise_kernel_with_index_grid_strideIlZZZN2at6native17linspace_cuda_outERKN3c106ScalarES6_lRNS1_6TensorEENKUlvE0_clEvENKUlvE0_clEvEUllE_EEvT_T0_PN15function_traitsISD_E11result_typeE.kd
    .uniform_work_group_size: 1
    .uses_dynamic_stack: false
    .vgpr_count:     9
    .vgpr_spill_count: 0
    .wavefront_size: 32
    .workgroup_processor_mode: 1
  - .args:
      - .offset:         0
        .size:           4
        .value_kind:     by_value
      - .offset:         16
        .size:           80
        .value_kind:     by_value
      - .address_space:  global
        .offset:         96
        .size:           8
        .value_kind:     global_buffer
      - .offset:         104
        .size:           4
        .value_kind:     hidden_block_count_x
      - .offset:         108
        .size:           4
        .value_kind:     hidden_block_count_y
      - .offset:         112
        .size:           4
        .value_kind:     hidden_block_count_z
      - .offset:         116
        .size:           2
        .value_kind:     hidden_group_size_x
      - .offset:         118
        .size:           2
        .value_kind:     hidden_group_size_y
      - .offset:         120
        .size:           2
        .value_kind:     hidden_group_size_z
      - .offset:         122
        .size:           2
        .value_kind:     hidden_remainder_x
      - .offset:         124
        .size:           2
        .value_kind:     hidden_remainder_y
      - .offset:         126
        .size:           2
        .value_kind:     hidden_remainder_z
      - .offset:         144
        .size:           8
        .value_kind:     hidden_global_offset_x
      - .offset:         152
        .size:           8
        .value_kind:     hidden_global_offset_y
      - .offset:         160
        .size:           8
        .value_kind:     hidden_global_offset_z
      - .offset:         168
        .size:           2
        .value_kind:     hidden_grid_dims
    .group_segment_fixed_size: 0
    .kernarg_segment_align: 16
    .kernarg_segment_size: 360
    .language:       OpenCL C
    .language_version:
      - 2
      - 0
    .max_flat_workgroup_size: 128
    .name:           _ZN12_GLOBAL__N_141elementwise_kernel_with_index_grid_strideIiZZZN2at6native17linspace_cuda_outERKN3c106ScalarES6_lRNS1_6TensorEENKUlvE0_clEvENKUlvE1_clEvEUllE_EEvT_T0_PN15function_traitsISD_E11result_typeE
    .private_segment_fixed_size: 0
    .sgpr_count:     26
    .sgpr_spill_count: 0
    .symbol:         _ZN12_GLOBAL__N_141elementwise_kernel_with_index_grid_strideIiZZZN2at6native17linspace_cuda_outERKN3c106ScalarES6_lRNS1_6TensorEENKUlvE0_clEvENKUlvE1_clEvEUllE_EEvT_T0_PN15function_traitsISD_E11result_typeE.kd
    .uniform_work_group_size: 1
    .uses_dynamic_stack: false
    .vgpr_count:     10
    .vgpr_spill_count: 0
    .wavefront_size: 32
    .workgroup_processor_mode: 1
  - .args:
      - .offset:         0
        .size:           8
        .value_kind:     by_value
      - .offset:         16
        .size:           80
        .value_kind:     by_value
      - .address_space:  global
        .offset:         96
        .size:           8
        .value_kind:     global_buffer
      - .offset:         104
        .size:           4
        .value_kind:     hidden_block_count_x
      - .offset:         108
        .size:           4
        .value_kind:     hidden_block_count_y
      - .offset:         112
        .size:           4
        .value_kind:     hidden_block_count_z
      - .offset:         116
        .size:           2
        .value_kind:     hidden_group_size_x
      - .offset:         118
        .size:           2
        .value_kind:     hidden_group_size_y
      - .offset:         120
        .size:           2
        .value_kind:     hidden_group_size_z
      - .offset:         122
        .size:           2
        .value_kind:     hidden_remainder_x
      - .offset:         124
        .size:           2
        .value_kind:     hidden_remainder_y
      - .offset:         126
        .size:           2
        .value_kind:     hidden_remainder_z
      - .offset:         144
        .size:           8
        .value_kind:     hidden_global_offset_x
      - .offset:         152
        .size:           8
        .value_kind:     hidden_global_offset_y
      - .offset:         160
        .size:           8
        .value_kind:     hidden_global_offset_z
      - .offset:         168
        .size:           2
        .value_kind:     hidden_grid_dims
    .group_segment_fixed_size: 0
    .kernarg_segment_align: 16
    .kernarg_segment_size: 360
    .language:       OpenCL C
    .language_version:
      - 2
      - 0
    .max_flat_workgroup_size: 128
    .name:           _ZN12_GLOBAL__N_141elementwise_kernel_with_index_grid_strideIlZZZN2at6native17linspace_cuda_outERKN3c106ScalarES6_lRNS1_6TensorEENKUlvE0_clEvENKUlvE1_clEvEUllE_EEvT_T0_PN15function_traitsISD_E11result_typeE
    .private_segment_fixed_size: 0
    .sgpr_count:     26
    .sgpr_spill_count: 0
    .symbol:         _ZN12_GLOBAL__N_141elementwise_kernel_with_index_grid_strideIlZZZN2at6native17linspace_cuda_outERKN3c106ScalarES6_lRNS1_6TensorEENKUlvE0_clEvENKUlvE1_clEvEUllE_EEvT_T0_PN15function_traitsISD_E11result_typeE.kd
    .uniform_work_group_size: 1
    .uses_dynamic_stack: false
    .vgpr_count:     10
    .vgpr_spill_count: 0
    .wavefront_size: 32
    .workgroup_processor_mode: 1
  - .args:
      - .offset:         0
        .size:           4
        .value_kind:     by_value
      - .offset:         8
        .size:           40
        .value_kind:     by_value
      - .address_space:  global
        .offset:         48
        .size:           8
        .value_kind:     global_buffer
      - .offset:         56
        .size:           4
        .value_kind:     hidden_block_count_x
      - .offset:         60
        .size:           4
        .value_kind:     hidden_block_count_y
      - .offset:         64
        .size:           4
        .value_kind:     hidden_block_count_z
      - .offset:         68
        .size:           2
        .value_kind:     hidden_group_size_x
      - .offset:         70
        .size:           2
        .value_kind:     hidden_group_size_y
      - .offset:         72
        .size:           2
        .value_kind:     hidden_group_size_z
      - .offset:         74
        .size:           2
        .value_kind:     hidden_remainder_x
      - .offset:         76
        .size:           2
        .value_kind:     hidden_remainder_y
      - .offset:         78
        .size:           2
        .value_kind:     hidden_remainder_z
      - .offset:         96
        .size:           8
        .value_kind:     hidden_global_offset_x
      - .offset:         104
        .size:           8
        .value_kind:     hidden_global_offset_y
      - .offset:         112
        .size:           8
        .value_kind:     hidden_global_offset_z
      - .offset:         120
        .size:           2
        .value_kind:     hidden_grid_dims
    .group_segment_fixed_size: 0
    .kernarg_segment_align: 8
    .kernarg_segment_size: 312
    .language:       OpenCL C
    .language_version:
      - 2
      - 0
    .max_flat_workgroup_size: 128
    .name:           _ZN12_GLOBAL__N_141elementwise_kernel_with_index_grid_strideIiZZZN2at6native17linspace_cuda_outERKN3c106ScalarES6_lRNS1_6TensorEENKUlvE0_clEvENKUlvE2_clEvEUllE_EEvT_T0_PN15function_traitsISD_E11result_typeE
    .private_segment_fixed_size: 0
    .sgpr_count:     19
    .sgpr_spill_count: 0
    .symbol:         _ZN12_GLOBAL__N_141elementwise_kernel_with_index_grid_strideIiZZZN2at6native17linspace_cuda_outERKN3c106ScalarES6_lRNS1_6TensorEENKUlvE0_clEvENKUlvE2_clEvEUllE_EEvT_T0_PN15function_traitsISD_E11result_typeE.kd
    .uniform_work_group_size: 1
    .uses_dynamic_stack: false
    .vgpr_count:     9
    .vgpr_spill_count: 0
    .wavefront_size: 32
    .workgroup_processor_mode: 1
  - .args:
      - .offset:         0
        .size:           8
        .value_kind:     by_value
      - .offset:         8
        .size:           40
        .value_kind:     by_value
      - .address_space:  global
        .offset:         48
        .size:           8
        .value_kind:     global_buffer
      - .offset:         56
        .size:           4
        .value_kind:     hidden_block_count_x
      - .offset:         60
        .size:           4
        .value_kind:     hidden_block_count_y
      - .offset:         64
        .size:           4
        .value_kind:     hidden_block_count_z
      - .offset:         68
        .size:           2
        .value_kind:     hidden_group_size_x
      - .offset:         70
        .size:           2
        .value_kind:     hidden_group_size_y
      - .offset:         72
        .size:           2
        .value_kind:     hidden_group_size_z
      - .offset:         74
        .size:           2
        .value_kind:     hidden_remainder_x
      - .offset:         76
        .size:           2
        .value_kind:     hidden_remainder_y
      - .offset:         78
        .size:           2
        .value_kind:     hidden_remainder_z
      - .offset:         96
        .size:           8
        .value_kind:     hidden_global_offset_x
      - .offset:         104
        .size:           8
        .value_kind:     hidden_global_offset_y
      - .offset:         112
        .size:           8
        .value_kind:     hidden_global_offset_z
      - .offset:         120
        .size:           2
        .value_kind:     hidden_grid_dims
    .group_segment_fixed_size: 0
    .kernarg_segment_align: 8
    .kernarg_segment_size: 312
    .language:       OpenCL C
    .language_version:
      - 2
      - 0
    .max_flat_workgroup_size: 128
    .name:           _ZN12_GLOBAL__N_141elementwise_kernel_with_index_grid_strideIlZZZN2at6native17linspace_cuda_outERKN3c106ScalarES6_lRNS1_6TensorEENKUlvE0_clEvENKUlvE2_clEvEUllE_EEvT_T0_PN15function_traitsISD_E11result_typeE
    .private_segment_fixed_size: 0
    .sgpr_count:     20
    .sgpr_spill_count: 0
    .symbol:         _ZN12_GLOBAL__N_141elementwise_kernel_with_index_grid_strideIlZZZN2at6native17linspace_cuda_outERKN3c106ScalarES6_lRNS1_6TensorEENKUlvE0_clEvENKUlvE2_clEvEUllE_EEvT_T0_PN15function_traitsISD_E11result_typeE.kd
    .uniform_work_group_size: 1
    .uses_dynamic_stack: false
    .vgpr_count:     9
    .vgpr_spill_count: 0
    .wavefront_size: 32
    .workgroup_processor_mode: 1
  - .args:
      - .offset:         0
        .size:           4
        .value_kind:     by_value
      - .offset:         8
        .size:           32
        .value_kind:     by_value
      - .address_space:  global
        .offset:         40
        .size:           8
        .value_kind:     global_buffer
      - .offset:         48
        .size:           4
        .value_kind:     hidden_block_count_x
      - .offset:         52
        .size:           4
        .value_kind:     hidden_block_count_y
      - .offset:         56
        .size:           4
        .value_kind:     hidden_block_count_z
      - .offset:         60
        .size:           2
        .value_kind:     hidden_group_size_x
      - .offset:         62
        .size:           2
        .value_kind:     hidden_group_size_y
      - .offset:         64
        .size:           2
        .value_kind:     hidden_group_size_z
      - .offset:         66
        .size:           2
        .value_kind:     hidden_remainder_x
      - .offset:         68
        .size:           2
        .value_kind:     hidden_remainder_y
      - .offset:         70
        .size:           2
        .value_kind:     hidden_remainder_z
      - .offset:         88
        .size:           8
        .value_kind:     hidden_global_offset_x
      - .offset:         96
        .size:           8
        .value_kind:     hidden_global_offset_y
      - .offset:         104
        .size:           8
        .value_kind:     hidden_global_offset_z
      - .offset:         112
        .size:           2
        .value_kind:     hidden_grid_dims
    .group_segment_fixed_size: 0
    .kernarg_segment_align: 8
    .kernarg_segment_size: 304
    .language:       OpenCL C
    .language_version:
      - 2
      - 0
    .max_flat_workgroup_size: 128
    .name:           _ZN12_GLOBAL__N_141elementwise_kernel_with_index_grid_strideIiZZZN2at6native17linspace_cuda_outERKN3c106ScalarES6_lRNS1_6TensorEENKUlvE0_clEvENKUlvE3_clEvEUllE_EEvT_T0_PN15function_traitsISD_E11result_typeE
    .private_segment_fixed_size: 0
    .sgpr_count:     27
    .sgpr_spill_count: 0
    .symbol:         _ZN12_GLOBAL__N_141elementwise_kernel_with_index_grid_strideIiZZZN2at6native17linspace_cuda_outERKN3c106ScalarES6_lRNS1_6TensorEENKUlvE0_clEvENKUlvE3_clEvEUllE_EEvT_T0_PN15function_traitsISD_E11result_typeE.kd
    .uniform_work_group_size: 1
    .uses_dynamic_stack: false
    .vgpr_count:     18
    .vgpr_spill_count: 0
    .wavefront_size: 32
    .workgroup_processor_mode: 1
  - .args:
      - .offset:         0
        .size:           8
        .value_kind:     by_value
      - .offset:         8
        .size:           32
        .value_kind:     by_value
      - .address_space:  global
        .offset:         40
        .size:           8
        .value_kind:     global_buffer
      - .offset:         48
        .size:           4
        .value_kind:     hidden_block_count_x
      - .offset:         52
        .size:           4
        .value_kind:     hidden_block_count_y
      - .offset:         56
        .size:           4
        .value_kind:     hidden_block_count_z
      - .offset:         60
        .size:           2
        .value_kind:     hidden_group_size_x
      - .offset:         62
        .size:           2
        .value_kind:     hidden_group_size_y
      - .offset:         64
        .size:           2
        .value_kind:     hidden_group_size_z
      - .offset:         66
        .size:           2
        .value_kind:     hidden_remainder_x
      - .offset:         68
        .size:           2
        .value_kind:     hidden_remainder_y
      - .offset:         70
        .size:           2
        .value_kind:     hidden_remainder_z
      - .offset:         88
        .size:           8
        .value_kind:     hidden_global_offset_x
      - .offset:         96
        .size:           8
        .value_kind:     hidden_global_offset_y
      - .offset:         104
        .size:           8
        .value_kind:     hidden_global_offset_z
      - .offset:         112
        .size:           2
        .value_kind:     hidden_grid_dims
    .group_segment_fixed_size: 0
    .kernarg_segment_align: 8
    .kernarg_segment_size: 304
    .language:       OpenCL C
    .language_version:
      - 2
      - 0
    .max_flat_workgroup_size: 128
    .name:           _ZN12_GLOBAL__N_141elementwise_kernel_with_index_grid_strideIlZZZN2at6native17linspace_cuda_outERKN3c106ScalarES6_lRNS1_6TensorEENKUlvE0_clEvENKUlvE3_clEvEUllE_EEvT_T0_PN15function_traitsISD_E11result_typeE
    .private_segment_fixed_size: 0
    .sgpr_count:     34
    .sgpr_spill_count: 0
    .symbol:         _ZN12_GLOBAL__N_141elementwise_kernel_with_index_grid_strideIlZZZN2at6native17linspace_cuda_outERKN3c106ScalarES6_lRNS1_6TensorEENKUlvE0_clEvENKUlvE3_clEvEUllE_EEvT_T0_PN15function_traitsISD_E11result_typeE.kd
    .uniform_work_group_size: 1
    .uses_dynamic_stack: false
    .vgpr_count:     30
    .vgpr_spill_count: 0
    .wavefront_size: 32
    .workgroup_processor_mode: 1
  - .args:
      - .offset:         0
        .size:           4
        .value_kind:     by_value
      - .offset:         8
        .size:           32
        .value_kind:     by_value
      - .address_space:  global
        .offset:         40
        .size:           8
        .value_kind:     global_buffer
      - .offset:         48
        .size:           4
        .value_kind:     hidden_block_count_x
      - .offset:         52
        .size:           4
        .value_kind:     hidden_block_count_y
      - .offset:         56
        .size:           4
        .value_kind:     hidden_block_count_z
      - .offset:         60
        .size:           2
        .value_kind:     hidden_group_size_x
      - .offset:         62
        .size:           2
        .value_kind:     hidden_group_size_y
      - .offset:         64
        .size:           2
        .value_kind:     hidden_group_size_z
      - .offset:         66
        .size:           2
        .value_kind:     hidden_remainder_x
      - .offset:         68
        .size:           2
        .value_kind:     hidden_remainder_y
      - .offset:         70
        .size:           2
        .value_kind:     hidden_remainder_z
      - .offset:         88
        .size:           8
        .value_kind:     hidden_global_offset_x
      - .offset:         96
        .size:           8
        .value_kind:     hidden_global_offset_y
      - .offset:         104
        .size:           8
        .value_kind:     hidden_global_offset_z
      - .offset:         112
        .size:           2
        .value_kind:     hidden_grid_dims
    .group_segment_fixed_size: 0
    .kernarg_segment_align: 8
    .kernarg_segment_size: 304
    .language:       OpenCL C
    .language_version:
      - 2
      - 0
    .max_flat_workgroup_size: 128
    .name:           _ZN12_GLOBAL__N_141elementwise_kernel_with_index_grid_strideIiZZZN2at6native17linspace_cuda_outERKN3c106ScalarES6_lRNS1_6TensorEENKUlvE0_clEvENKUlvE4_clEvEUllE_EEvT_T0_PN15function_traitsISD_E11result_typeE
    .private_segment_fixed_size: 0
    .sgpr_count:     28
    .sgpr_spill_count: 0
    .symbol:         _ZN12_GLOBAL__N_141elementwise_kernel_with_index_grid_strideIiZZZN2at6native17linspace_cuda_outERKN3c106ScalarES6_lRNS1_6TensorEENKUlvE0_clEvENKUlvE4_clEvEUllE_EEvT_T0_PN15function_traitsISD_E11result_typeE.kd
    .uniform_work_group_size: 1
    .uses_dynamic_stack: false
    .vgpr_count:     25
    .vgpr_spill_count: 0
    .wavefront_size: 32
    .workgroup_processor_mode: 1
  - .args:
      - .offset:         0
        .size:           8
        .value_kind:     by_value
      - .offset:         8
        .size:           32
        .value_kind:     by_value
      - .address_space:  global
        .offset:         40
        .size:           8
        .value_kind:     global_buffer
      - .offset:         48
        .size:           4
        .value_kind:     hidden_block_count_x
      - .offset:         52
        .size:           4
        .value_kind:     hidden_block_count_y
      - .offset:         56
        .size:           4
        .value_kind:     hidden_block_count_z
      - .offset:         60
        .size:           2
        .value_kind:     hidden_group_size_x
      - .offset:         62
        .size:           2
        .value_kind:     hidden_group_size_y
      - .offset:         64
        .size:           2
        .value_kind:     hidden_group_size_z
      - .offset:         66
        .size:           2
        .value_kind:     hidden_remainder_x
      - .offset:         68
        .size:           2
        .value_kind:     hidden_remainder_y
      - .offset:         70
        .size:           2
        .value_kind:     hidden_remainder_z
      - .offset:         88
        .size:           8
        .value_kind:     hidden_global_offset_x
      - .offset:         96
        .size:           8
        .value_kind:     hidden_global_offset_y
      - .offset:         104
        .size:           8
        .value_kind:     hidden_global_offset_z
      - .offset:         112
        .size:           2
        .value_kind:     hidden_grid_dims
    .group_segment_fixed_size: 0
    .kernarg_segment_align: 8
    .kernarg_segment_size: 304
    .language:       OpenCL C
    .language_version:
      - 2
      - 0
    .max_flat_workgroup_size: 128
    .name:           _ZN12_GLOBAL__N_141elementwise_kernel_with_index_grid_strideIlZZZN2at6native17linspace_cuda_outERKN3c106ScalarES6_lRNS1_6TensorEENKUlvE0_clEvENKUlvE4_clEvEUllE_EEvT_T0_PN15function_traitsISD_E11result_typeE
    .private_segment_fixed_size: 0
    .sgpr_count:     36
    .sgpr_spill_count: 0
    .symbol:         _ZN12_GLOBAL__N_141elementwise_kernel_with_index_grid_strideIlZZZN2at6native17linspace_cuda_outERKN3c106ScalarES6_lRNS1_6TensorEENKUlvE0_clEvENKUlvE4_clEvEUllE_EEvT_T0_PN15function_traitsISD_E11result_typeE.kd
    .uniform_work_group_size: 1
    .uses_dynamic_stack: false
    .vgpr_count:     31
    .vgpr_spill_count: 0
    .wavefront_size: 32
    .workgroup_processor_mode: 1
  - .args:
      - .offset:         0
        .size:           4
        .value_kind:     by_value
      - .offset:         8
        .size:           32
        .value_kind:     by_value
      - .address_space:  global
        .offset:         40
        .size:           8
        .value_kind:     global_buffer
      - .offset:         48
        .size:           4
        .value_kind:     hidden_block_count_x
      - .offset:         52
        .size:           4
        .value_kind:     hidden_block_count_y
      - .offset:         56
        .size:           4
        .value_kind:     hidden_block_count_z
      - .offset:         60
        .size:           2
        .value_kind:     hidden_group_size_x
      - .offset:         62
        .size:           2
        .value_kind:     hidden_group_size_y
      - .offset:         64
        .size:           2
        .value_kind:     hidden_group_size_z
      - .offset:         66
        .size:           2
        .value_kind:     hidden_remainder_x
      - .offset:         68
        .size:           2
        .value_kind:     hidden_remainder_y
      - .offset:         70
        .size:           2
        .value_kind:     hidden_remainder_z
      - .offset:         88
        .size:           8
        .value_kind:     hidden_global_offset_x
      - .offset:         96
        .size:           8
        .value_kind:     hidden_global_offset_y
      - .offset:         104
        .size:           8
        .value_kind:     hidden_global_offset_z
      - .offset:         112
        .size:           2
        .value_kind:     hidden_grid_dims
    .group_segment_fixed_size: 0
    .kernarg_segment_align: 8
    .kernarg_segment_size: 304
    .language:       OpenCL C
    .language_version:
      - 2
      - 0
    .max_flat_workgroup_size: 128
    .name:           _ZN12_GLOBAL__N_141elementwise_kernel_with_index_grid_strideIiZZZN2at6native17logspace_cuda_outERKN3c106ScalarES6_ldRNS1_6TensorEENKUlvE_clEvENKUlvE_clEvEUllE_EEvT_T0_PN15function_traitsISD_E11result_typeE
    .private_segment_fixed_size: 0
    .sgpr_count:     19
    .sgpr_spill_count: 0
    .symbol:         _ZN12_GLOBAL__N_141elementwise_kernel_with_index_grid_strideIiZZZN2at6native17logspace_cuda_outERKN3c106ScalarES6_ldRNS1_6TensorEENKUlvE_clEvENKUlvE_clEvEUllE_EEvT_T0_PN15function_traitsISD_E11result_typeE.kd
    .uniform_work_group_size: 1
    .uses_dynamic_stack: false
    .vgpr_count:     20
    .vgpr_spill_count: 0
    .wavefront_size: 32
    .workgroup_processor_mode: 1
  - .args:
      - .offset:         0
        .size:           8
        .value_kind:     by_value
      - .offset:         8
        .size:           32
        .value_kind:     by_value
      - .address_space:  global
        .offset:         40
        .size:           8
        .value_kind:     global_buffer
      - .offset:         48
        .size:           4
        .value_kind:     hidden_block_count_x
      - .offset:         52
        .size:           4
        .value_kind:     hidden_block_count_y
      - .offset:         56
        .size:           4
        .value_kind:     hidden_block_count_z
      - .offset:         60
        .size:           2
        .value_kind:     hidden_group_size_x
      - .offset:         62
        .size:           2
        .value_kind:     hidden_group_size_y
      - .offset:         64
        .size:           2
        .value_kind:     hidden_group_size_z
      - .offset:         66
        .size:           2
        .value_kind:     hidden_remainder_x
      - .offset:         68
        .size:           2
        .value_kind:     hidden_remainder_y
      - .offset:         70
        .size:           2
        .value_kind:     hidden_remainder_z
      - .offset:         88
        .size:           8
        .value_kind:     hidden_global_offset_x
      - .offset:         96
        .size:           8
        .value_kind:     hidden_global_offset_y
      - .offset:         104
        .size:           8
        .value_kind:     hidden_global_offset_z
      - .offset:         112
        .size:           2
        .value_kind:     hidden_grid_dims
    .group_segment_fixed_size: 0
    .kernarg_segment_align: 8
    .kernarg_segment_size: 304
    .language:       OpenCL C
    .language_version:
      - 2
      - 0
    .max_flat_workgroup_size: 128
    .name:           _ZN12_GLOBAL__N_141elementwise_kernel_with_index_grid_strideIlZZZN2at6native17logspace_cuda_outERKN3c106ScalarES6_ldRNS1_6TensorEENKUlvE_clEvENKUlvE_clEvEUllE_EEvT_T0_PN15function_traitsISD_E11result_typeE
    .private_segment_fixed_size: 0
    .sgpr_count:     20
    .sgpr_spill_count: 0
    .symbol:         _ZN12_GLOBAL__N_141elementwise_kernel_with_index_grid_strideIlZZZN2at6native17logspace_cuda_outERKN3c106ScalarES6_ldRNS1_6TensorEENKUlvE_clEvENKUlvE_clEvEUllE_EEvT_T0_PN15function_traitsISD_E11result_typeE.kd
    .uniform_work_group_size: 1
    .uses_dynamic_stack: false
    .vgpr_count:     20
    .vgpr_spill_count: 0
    .wavefront_size: 32
    .workgroup_processor_mode: 1
  - .args:
      - .offset:         0
        .size:           4
        .value_kind:     by_value
      - .offset:         8
        .size:           32
        .value_kind:     by_value
      - .address_space:  global
        .offset:         40
        .size:           8
        .value_kind:     global_buffer
      - .offset:         48
        .size:           4
        .value_kind:     hidden_block_count_x
      - .offset:         52
        .size:           4
        .value_kind:     hidden_block_count_y
      - .offset:         56
        .size:           4
        .value_kind:     hidden_block_count_z
      - .offset:         60
        .size:           2
        .value_kind:     hidden_group_size_x
      - .offset:         62
        .size:           2
        .value_kind:     hidden_group_size_y
      - .offset:         64
        .size:           2
        .value_kind:     hidden_group_size_z
      - .offset:         66
        .size:           2
        .value_kind:     hidden_remainder_x
      - .offset:         68
        .size:           2
        .value_kind:     hidden_remainder_y
      - .offset:         70
        .size:           2
        .value_kind:     hidden_remainder_z
      - .offset:         88
        .size:           8
        .value_kind:     hidden_global_offset_x
      - .offset:         96
        .size:           8
        .value_kind:     hidden_global_offset_y
      - .offset:         104
        .size:           8
        .value_kind:     hidden_global_offset_z
      - .offset:         112
        .size:           2
        .value_kind:     hidden_grid_dims
    .group_segment_fixed_size: 0
    .kernarg_segment_align: 8
    .kernarg_segment_size: 304
    .language:       OpenCL C
    .language_version:
      - 2
      - 0
    .max_flat_workgroup_size: 128
    .name:           _ZN12_GLOBAL__N_141elementwise_kernel_with_index_grid_strideIiZZZN2at6native17logspace_cuda_outERKN3c106ScalarES6_ldRNS1_6TensorEENKUlvE_clEvENKUlvE0_clEvEUllE_EEvT_T0_PN15function_traitsISD_E11result_typeE
    .private_segment_fixed_size: 0
    .sgpr_count:     19
    .sgpr_spill_count: 0
    .symbol:         _ZN12_GLOBAL__N_141elementwise_kernel_with_index_grid_strideIiZZZN2at6native17logspace_cuda_outERKN3c106ScalarES6_ldRNS1_6TensorEENKUlvE_clEvENKUlvE0_clEvEUllE_EEvT_T0_PN15function_traitsISD_E11result_typeE.kd
    .uniform_work_group_size: 1
    .uses_dynamic_stack: false
    .vgpr_count:     20
    .vgpr_spill_count: 0
    .wavefront_size: 32
    .workgroup_processor_mode: 1
  - .args:
      - .offset:         0
        .size:           8
        .value_kind:     by_value
      - .offset:         8
        .size:           32
        .value_kind:     by_value
      - .address_space:  global
        .offset:         40
        .size:           8
        .value_kind:     global_buffer
      - .offset:         48
        .size:           4
        .value_kind:     hidden_block_count_x
      - .offset:         52
        .size:           4
        .value_kind:     hidden_block_count_y
      - .offset:         56
        .size:           4
        .value_kind:     hidden_block_count_z
      - .offset:         60
        .size:           2
        .value_kind:     hidden_group_size_x
      - .offset:         62
        .size:           2
        .value_kind:     hidden_group_size_y
      - .offset:         64
        .size:           2
        .value_kind:     hidden_group_size_z
      - .offset:         66
        .size:           2
        .value_kind:     hidden_remainder_x
      - .offset:         68
        .size:           2
        .value_kind:     hidden_remainder_y
      - .offset:         70
        .size:           2
        .value_kind:     hidden_remainder_z
      - .offset:         88
        .size:           8
        .value_kind:     hidden_global_offset_x
      - .offset:         96
        .size:           8
        .value_kind:     hidden_global_offset_y
      - .offset:         104
        .size:           8
        .value_kind:     hidden_global_offset_z
      - .offset:         112
        .size:           2
        .value_kind:     hidden_grid_dims
    .group_segment_fixed_size: 0
    .kernarg_segment_align: 8
    .kernarg_segment_size: 304
    .language:       OpenCL C
    .language_version:
      - 2
      - 0
    .max_flat_workgroup_size: 128
    .name:           _ZN12_GLOBAL__N_141elementwise_kernel_with_index_grid_strideIlZZZN2at6native17logspace_cuda_outERKN3c106ScalarES6_ldRNS1_6TensorEENKUlvE_clEvENKUlvE0_clEvEUllE_EEvT_T0_PN15function_traitsISD_E11result_typeE
    .private_segment_fixed_size: 0
    .sgpr_count:     20
    .sgpr_spill_count: 0
    .symbol:         _ZN12_GLOBAL__N_141elementwise_kernel_with_index_grid_strideIlZZZN2at6native17logspace_cuda_outERKN3c106ScalarES6_ldRNS1_6TensorEENKUlvE_clEvENKUlvE0_clEvEUllE_EEvT_T0_PN15function_traitsISD_E11result_typeE.kd
    .uniform_work_group_size: 1
    .uses_dynamic_stack: false
    .vgpr_count:     20
    .vgpr_spill_count: 0
    .wavefront_size: 32
    .workgroup_processor_mode: 1
  - .args:
      - .offset:         0
        .size:           4
        .value_kind:     by_value
      - .offset:         8
        .size:           40
        .value_kind:     by_value
      - .address_space:  global
        .offset:         48
        .size:           8
        .value_kind:     global_buffer
      - .offset:         56
        .size:           4
        .value_kind:     hidden_block_count_x
      - .offset:         60
        .size:           4
        .value_kind:     hidden_block_count_y
      - .offset:         64
        .size:           4
        .value_kind:     hidden_block_count_z
      - .offset:         68
        .size:           2
        .value_kind:     hidden_group_size_x
      - .offset:         70
        .size:           2
        .value_kind:     hidden_group_size_y
      - .offset:         72
        .size:           2
        .value_kind:     hidden_group_size_z
      - .offset:         74
        .size:           2
        .value_kind:     hidden_remainder_x
      - .offset:         76
        .size:           2
        .value_kind:     hidden_remainder_y
      - .offset:         78
        .size:           2
        .value_kind:     hidden_remainder_z
      - .offset:         96
        .size:           8
        .value_kind:     hidden_global_offset_x
      - .offset:         104
        .size:           8
        .value_kind:     hidden_global_offset_y
      - .offset:         112
        .size:           8
        .value_kind:     hidden_global_offset_z
      - .offset:         120
        .size:           2
        .value_kind:     hidden_grid_dims
    .group_segment_fixed_size: 0
    .kernarg_segment_align: 8
    .kernarg_segment_size: 312
    .language:       OpenCL C
    .language_version:
      - 2
      - 0
    .max_flat_workgroup_size: 128
    .name:           _ZN12_GLOBAL__N_141elementwise_kernel_with_index_grid_strideIiZZZN2at6native17logspace_cuda_outERKN3c106ScalarES6_ldRNS1_6TensorEENKUlvE_clEvENKUlvE1_clEvEUllE_EEvT_T0_PN15function_traitsISD_E11result_typeE
    .private_segment_fixed_size: 0
    .sgpr_count:     19
    .sgpr_spill_count: 0
    .symbol:         _ZN12_GLOBAL__N_141elementwise_kernel_with_index_grid_strideIiZZZN2at6native17logspace_cuda_outERKN3c106ScalarES6_ldRNS1_6TensorEENKUlvE_clEvENKUlvE1_clEvEUllE_EEvT_T0_PN15function_traitsISD_E11result_typeE.kd
    .uniform_work_group_size: 1
    .uses_dynamic_stack: false
    .vgpr_count:     22
    .vgpr_spill_count: 0
    .wavefront_size: 32
    .workgroup_processor_mode: 1
  - .args:
      - .offset:         0
        .size:           8
        .value_kind:     by_value
      - .offset:         8
        .size:           40
        .value_kind:     by_value
      - .address_space:  global
        .offset:         48
        .size:           8
        .value_kind:     global_buffer
      - .offset:         56
        .size:           4
        .value_kind:     hidden_block_count_x
      - .offset:         60
        .size:           4
        .value_kind:     hidden_block_count_y
      - .offset:         64
        .size:           4
        .value_kind:     hidden_block_count_z
      - .offset:         68
        .size:           2
        .value_kind:     hidden_group_size_x
      - .offset:         70
        .size:           2
        .value_kind:     hidden_group_size_y
      - .offset:         72
        .size:           2
        .value_kind:     hidden_group_size_z
      - .offset:         74
        .size:           2
        .value_kind:     hidden_remainder_x
      - .offset:         76
        .size:           2
        .value_kind:     hidden_remainder_y
      - .offset:         78
        .size:           2
        .value_kind:     hidden_remainder_z
      - .offset:         96
        .size:           8
        .value_kind:     hidden_global_offset_x
      - .offset:         104
        .size:           8
        .value_kind:     hidden_global_offset_y
      - .offset:         112
        .size:           8
        .value_kind:     hidden_global_offset_z
      - .offset:         120
        .size:           2
        .value_kind:     hidden_grid_dims
    .group_segment_fixed_size: 0
    .kernarg_segment_align: 8
    .kernarg_segment_size: 312
    .language:       OpenCL C
    .language_version:
      - 2
      - 0
    .max_flat_workgroup_size: 128
    .name:           _ZN12_GLOBAL__N_141elementwise_kernel_with_index_grid_strideIlZZZN2at6native17logspace_cuda_outERKN3c106ScalarES6_ldRNS1_6TensorEENKUlvE_clEvENKUlvE1_clEvEUllE_EEvT_T0_PN15function_traitsISD_E11result_typeE
    .private_segment_fixed_size: 0
    .sgpr_count:     20
    .sgpr_spill_count: 0
    .symbol:         _ZN12_GLOBAL__N_141elementwise_kernel_with_index_grid_strideIlZZZN2at6native17logspace_cuda_outERKN3c106ScalarES6_ldRNS1_6TensorEENKUlvE_clEvENKUlvE1_clEvEUllE_EEvT_T0_PN15function_traitsISD_E11result_typeE.kd
    .uniform_work_group_size: 1
    .uses_dynamic_stack: false
    .vgpr_count:     22
    .vgpr_spill_count: 0
    .wavefront_size: 32
    .workgroup_processor_mode: 1
  - .args:
      - .offset:         0
        .size:           4
        .value_kind:     by_value
      - .offset:         8
        .size:           48
        .value_kind:     by_value
      - .address_space:  global
        .offset:         56
        .size:           8
        .value_kind:     global_buffer
      - .offset:         64
        .size:           4
        .value_kind:     hidden_block_count_x
      - .offset:         68
        .size:           4
        .value_kind:     hidden_block_count_y
      - .offset:         72
        .size:           4
        .value_kind:     hidden_block_count_z
      - .offset:         76
        .size:           2
        .value_kind:     hidden_group_size_x
      - .offset:         78
        .size:           2
        .value_kind:     hidden_group_size_y
      - .offset:         80
        .size:           2
        .value_kind:     hidden_group_size_z
      - .offset:         82
        .size:           2
        .value_kind:     hidden_remainder_x
      - .offset:         84
        .size:           2
        .value_kind:     hidden_remainder_y
      - .offset:         86
        .size:           2
        .value_kind:     hidden_remainder_z
      - .offset:         104
        .size:           8
        .value_kind:     hidden_global_offset_x
      - .offset:         112
        .size:           8
        .value_kind:     hidden_global_offset_y
      - .offset:         120
        .size:           8
        .value_kind:     hidden_global_offset_z
      - .offset:         128
        .size:           2
        .value_kind:     hidden_grid_dims
    .group_segment_fixed_size: 0
    .kernarg_segment_align: 8
    .kernarg_segment_size: 320
    .language:       OpenCL C
    .language_version:
      - 2
      - 0
    .max_flat_workgroup_size: 128
    .name:           _ZN12_GLOBAL__N_141elementwise_kernel_with_index_grid_strideIiZZZN2at6native17logspace_cuda_outERKN3c106ScalarES6_ldRNS1_6TensorEENKUlvE_clEvENKUlvE2_clEvEUllE_EEvT_T0_PN15function_traitsISD_E11result_typeE
    .private_segment_fixed_size: 0
    .sgpr_count:     21
    .sgpr_spill_count: 0
    .symbol:         _ZN12_GLOBAL__N_141elementwise_kernel_with_index_grid_strideIiZZZN2at6native17logspace_cuda_outERKN3c106ScalarES6_ldRNS1_6TensorEENKUlvE_clEvENKUlvE2_clEvEUllE_EEvT_T0_PN15function_traitsISD_E11result_typeE.kd
    .uniform_work_group_size: 1
    .uses_dynamic_stack: false
    .vgpr_count:     22
    .vgpr_spill_count: 0
    .wavefront_size: 32
    .workgroup_processor_mode: 1
  - .args:
      - .offset:         0
        .size:           8
        .value_kind:     by_value
      - .offset:         8
        .size:           48
        .value_kind:     by_value
      - .address_space:  global
        .offset:         56
        .size:           8
        .value_kind:     global_buffer
      - .offset:         64
        .size:           4
        .value_kind:     hidden_block_count_x
      - .offset:         68
        .size:           4
        .value_kind:     hidden_block_count_y
      - .offset:         72
        .size:           4
        .value_kind:     hidden_block_count_z
      - .offset:         76
        .size:           2
        .value_kind:     hidden_group_size_x
      - .offset:         78
        .size:           2
        .value_kind:     hidden_group_size_y
      - .offset:         80
        .size:           2
        .value_kind:     hidden_group_size_z
      - .offset:         82
        .size:           2
        .value_kind:     hidden_remainder_x
      - .offset:         84
        .size:           2
        .value_kind:     hidden_remainder_y
      - .offset:         86
        .size:           2
        .value_kind:     hidden_remainder_z
      - .offset:         104
        .size:           8
        .value_kind:     hidden_global_offset_x
      - .offset:         112
        .size:           8
        .value_kind:     hidden_global_offset_y
      - .offset:         120
        .size:           8
        .value_kind:     hidden_global_offset_z
      - .offset:         128
        .size:           2
        .value_kind:     hidden_grid_dims
    .group_segment_fixed_size: 0
    .kernarg_segment_align: 8
    .kernarg_segment_size: 320
    .language:       OpenCL C
    .language_version:
      - 2
      - 0
    .max_flat_workgroup_size: 128
    .name:           _ZN12_GLOBAL__N_141elementwise_kernel_with_index_grid_strideIlZZZN2at6native17logspace_cuda_outERKN3c106ScalarES6_ldRNS1_6TensorEENKUlvE_clEvENKUlvE2_clEvEUllE_EEvT_T0_PN15function_traitsISD_E11result_typeE
    .private_segment_fixed_size: 0
    .sgpr_count:     23
    .sgpr_spill_count: 0
    .symbol:         _ZN12_GLOBAL__N_141elementwise_kernel_with_index_grid_strideIlZZZN2at6native17logspace_cuda_outERKN3c106ScalarES6_ldRNS1_6TensorEENKUlvE_clEvENKUlvE2_clEvEUllE_EEvT_T0_PN15function_traitsISD_E11result_typeE.kd
    .uniform_work_group_size: 1
    .uses_dynamic_stack: false
    .vgpr_count:     22
    .vgpr_spill_count: 0
    .wavefront_size: 32
    .workgroup_processor_mode: 1
  - .args:
      - .offset:         0
        .size:           4
        .value_kind:     by_value
      - .offset:         8
        .size:           32
        .value_kind:     by_value
      - .address_space:  global
        .offset:         40
        .size:           8
        .value_kind:     global_buffer
      - .offset:         48
        .size:           4
        .value_kind:     hidden_block_count_x
      - .offset:         52
        .size:           4
        .value_kind:     hidden_block_count_y
      - .offset:         56
        .size:           4
        .value_kind:     hidden_block_count_z
      - .offset:         60
        .size:           2
        .value_kind:     hidden_group_size_x
      - .offset:         62
        .size:           2
        .value_kind:     hidden_group_size_y
      - .offset:         64
        .size:           2
        .value_kind:     hidden_group_size_z
      - .offset:         66
        .size:           2
        .value_kind:     hidden_remainder_x
      - .offset:         68
        .size:           2
        .value_kind:     hidden_remainder_y
      - .offset:         70
        .size:           2
        .value_kind:     hidden_remainder_z
      - .offset:         88
        .size:           8
        .value_kind:     hidden_global_offset_x
      - .offset:         96
        .size:           8
        .value_kind:     hidden_global_offset_y
      - .offset:         104
        .size:           8
        .value_kind:     hidden_global_offset_z
      - .offset:         112
        .size:           2
        .value_kind:     hidden_grid_dims
    .group_segment_fixed_size: 0
    .kernarg_segment_align: 8
    .kernarg_segment_size: 304
    .language:       OpenCL C
    .language_version:
      - 2
      - 0
    .max_flat_workgroup_size: 128
    .name:           _ZN12_GLOBAL__N_141elementwise_kernel_with_index_grid_strideIiZZZN2at6native17logspace_cuda_outERKN3c106ScalarES6_ldRNS1_6TensorEENKUlvE_clEvENKUlvE3_clEvEUllE_EEvT_T0_PN15function_traitsISD_E11result_typeE
    .private_segment_fixed_size: 0
    .sgpr_count:     19
    .sgpr_spill_count: 0
    .symbol:         _ZN12_GLOBAL__N_141elementwise_kernel_with_index_grid_strideIiZZZN2at6native17logspace_cuda_outERKN3c106ScalarES6_ldRNS1_6TensorEENKUlvE_clEvENKUlvE3_clEvEUllE_EEvT_T0_PN15function_traitsISD_E11result_typeE.kd
    .uniform_work_group_size: 1
    .uses_dynamic_stack: false
    .vgpr_count:     22
    .vgpr_spill_count: 0
    .wavefront_size: 32
    .workgroup_processor_mode: 1
  - .args:
      - .offset:         0
        .size:           8
        .value_kind:     by_value
      - .offset:         8
        .size:           32
        .value_kind:     by_value
      - .address_space:  global
        .offset:         40
        .size:           8
        .value_kind:     global_buffer
      - .offset:         48
        .size:           4
        .value_kind:     hidden_block_count_x
      - .offset:         52
        .size:           4
        .value_kind:     hidden_block_count_y
      - .offset:         56
        .size:           4
        .value_kind:     hidden_block_count_z
      - .offset:         60
        .size:           2
        .value_kind:     hidden_group_size_x
      - .offset:         62
        .size:           2
        .value_kind:     hidden_group_size_y
      - .offset:         64
        .size:           2
        .value_kind:     hidden_group_size_z
      - .offset:         66
        .size:           2
        .value_kind:     hidden_remainder_x
      - .offset:         68
        .size:           2
        .value_kind:     hidden_remainder_y
      - .offset:         70
        .size:           2
        .value_kind:     hidden_remainder_z
      - .offset:         88
        .size:           8
        .value_kind:     hidden_global_offset_x
      - .offset:         96
        .size:           8
        .value_kind:     hidden_global_offset_y
      - .offset:         104
        .size:           8
        .value_kind:     hidden_global_offset_z
      - .offset:         112
        .size:           2
        .value_kind:     hidden_grid_dims
    .group_segment_fixed_size: 0
    .kernarg_segment_align: 8
    .kernarg_segment_size: 304
    .language:       OpenCL C
    .language_version:
      - 2
      - 0
    .max_flat_workgroup_size: 128
    .name:           _ZN12_GLOBAL__N_141elementwise_kernel_with_index_grid_strideIlZZZN2at6native17logspace_cuda_outERKN3c106ScalarES6_ldRNS1_6TensorEENKUlvE_clEvENKUlvE3_clEvEUllE_EEvT_T0_PN15function_traitsISD_E11result_typeE
    .private_segment_fixed_size: 0
    .sgpr_count:     20
    .sgpr_spill_count: 0
    .symbol:         _ZN12_GLOBAL__N_141elementwise_kernel_with_index_grid_strideIlZZZN2at6native17logspace_cuda_outERKN3c106ScalarES6_ldRNS1_6TensorEENKUlvE_clEvENKUlvE3_clEvEUllE_EEvT_T0_PN15function_traitsISD_E11result_typeE.kd
    .uniform_work_group_size: 1
    .uses_dynamic_stack: false
    .vgpr_count:     22
    .vgpr_spill_count: 0
    .wavefront_size: 32
    .workgroup_processor_mode: 1
  - .args:
      - .offset:         0
        .size:           4
        .value_kind:     by_value
      - .offset:         8
        .size:           48
        .value_kind:     by_value
      - .address_space:  global
        .offset:         56
        .size:           8
        .value_kind:     global_buffer
      - .offset:         64
        .size:           4
        .value_kind:     hidden_block_count_x
      - .offset:         68
        .size:           4
        .value_kind:     hidden_block_count_y
      - .offset:         72
        .size:           4
        .value_kind:     hidden_block_count_z
      - .offset:         76
        .size:           2
        .value_kind:     hidden_group_size_x
      - .offset:         78
        .size:           2
        .value_kind:     hidden_group_size_y
      - .offset:         80
        .size:           2
        .value_kind:     hidden_group_size_z
      - .offset:         82
        .size:           2
        .value_kind:     hidden_remainder_x
      - .offset:         84
        .size:           2
        .value_kind:     hidden_remainder_y
      - .offset:         86
        .size:           2
        .value_kind:     hidden_remainder_z
      - .offset:         104
        .size:           8
        .value_kind:     hidden_global_offset_x
      - .offset:         112
        .size:           8
        .value_kind:     hidden_global_offset_y
      - .offset:         120
        .size:           8
        .value_kind:     hidden_global_offset_z
      - .offset:         128
        .size:           2
        .value_kind:     hidden_grid_dims
    .group_segment_fixed_size: 0
    .kernarg_segment_align: 8
    .kernarg_segment_size: 320
    .language:       OpenCL C
    .language_version:
      - 2
      - 0
    .max_flat_workgroup_size: 128
    .name:           _ZN12_GLOBAL__N_141elementwise_kernel_with_index_grid_strideIiZZZN2at6native17logspace_cuda_outERKN3c106ScalarES6_ldRNS1_6TensorEENKUlvE0_clEvENKUlvE_clEvEUllE_EEvT_T0_PN15function_traitsISD_E11result_typeE
    .private_segment_fixed_size: 0
    .sgpr_count:     78
    .sgpr_spill_count: 0
    .symbol:         _ZN12_GLOBAL__N_141elementwise_kernel_with_index_grid_strideIiZZZN2at6native17logspace_cuda_outERKN3c106ScalarES6_ldRNS1_6TensorEENKUlvE0_clEvENKUlvE_clEvEUllE_EEvT_T0_PN15function_traitsISD_E11result_typeE.kd
    .uniform_work_group_size: 1
    .uses_dynamic_stack: false
    .vgpr_count:     31
    .vgpr_spill_count: 0
    .wavefront_size: 32
    .workgroup_processor_mode: 1
  - .args:
      - .offset:         0
        .size:           8
        .value_kind:     by_value
      - .offset:         8
        .size:           48
        .value_kind:     by_value
      - .address_space:  global
        .offset:         56
        .size:           8
        .value_kind:     global_buffer
      - .offset:         64
        .size:           4
        .value_kind:     hidden_block_count_x
      - .offset:         68
        .size:           4
        .value_kind:     hidden_block_count_y
      - .offset:         72
        .size:           4
        .value_kind:     hidden_block_count_z
      - .offset:         76
        .size:           2
        .value_kind:     hidden_group_size_x
      - .offset:         78
        .size:           2
        .value_kind:     hidden_group_size_y
      - .offset:         80
        .size:           2
        .value_kind:     hidden_group_size_z
      - .offset:         82
        .size:           2
        .value_kind:     hidden_remainder_x
      - .offset:         84
        .size:           2
        .value_kind:     hidden_remainder_y
      - .offset:         86
        .size:           2
        .value_kind:     hidden_remainder_z
      - .offset:         104
        .size:           8
        .value_kind:     hidden_global_offset_x
      - .offset:         112
        .size:           8
        .value_kind:     hidden_global_offset_y
      - .offset:         120
        .size:           8
        .value_kind:     hidden_global_offset_z
      - .offset:         128
        .size:           2
        .value_kind:     hidden_grid_dims
    .group_segment_fixed_size: 0
    .kernarg_segment_align: 8
    .kernarg_segment_size: 320
    .language:       OpenCL C
    .language_version:
      - 2
      - 0
    .max_flat_workgroup_size: 128
    .name:           _ZN12_GLOBAL__N_141elementwise_kernel_with_index_grid_strideIlZZZN2at6native17logspace_cuda_outERKN3c106ScalarES6_ldRNS1_6TensorEENKUlvE0_clEvENKUlvE_clEvEUllE_EEvT_T0_PN15function_traitsISD_E11result_typeE
    .private_segment_fixed_size: 0
    .sgpr_count:     79
    .sgpr_spill_count: 0
    .symbol:         _ZN12_GLOBAL__N_141elementwise_kernel_with_index_grid_strideIlZZZN2at6native17logspace_cuda_outERKN3c106ScalarES6_ldRNS1_6TensorEENKUlvE0_clEvENKUlvE_clEvEUllE_EEvT_T0_PN15function_traitsISD_E11result_typeE.kd
    .uniform_work_group_size: 1
    .uses_dynamic_stack: false
    .vgpr_count:     31
    .vgpr_spill_count: 0
    .wavefront_size: 32
    .workgroup_processor_mode: 1
  - .args:
      - .offset:         0
        .size:           4
        .value_kind:     by_value
      - .offset:         8
        .size:           40
        .value_kind:     by_value
      - .address_space:  global
        .offset:         48
        .size:           8
        .value_kind:     global_buffer
      - .offset:         56
        .size:           4
        .value_kind:     hidden_block_count_x
      - .offset:         60
        .size:           4
        .value_kind:     hidden_block_count_y
      - .offset:         64
        .size:           4
        .value_kind:     hidden_block_count_z
      - .offset:         68
        .size:           2
        .value_kind:     hidden_group_size_x
      - .offset:         70
        .size:           2
        .value_kind:     hidden_group_size_y
      - .offset:         72
        .size:           2
        .value_kind:     hidden_group_size_z
      - .offset:         74
        .size:           2
        .value_kind:     hidden_remainder_x
      - .offset:         76
        .size:           2
        .value_kind:     hidden_remainder_y
      - .offset:         78
        .size:           2
        .value_kind:     hidden_remainder_z
      - .offset:         96
        .size:           8
        .value_kind:     hidden_global_offset_x
      - .offset:         104
        .size:           8
        .value_kind:     hidden_global_offset_y
      - .offset:         112
        .size:           8
        .value_kind:     hidden_global_offset_z
      - .offset:         120
        .size:           2
        .value_kind:     hidden_grid_dims
    .group_segment_fixed_size: 0
    .kernarg_segment_align: 8
    .kernarg_segment_size: 312
    .language:       OpenCL C
    .language_version:
      - 2
      - 0
    .max_flat_workgroup_size: 128
    .name:           _ZN12_GLOBAL__N_141elementwise_kernel_with_index_grid_strideIiZZZN2at6native17logspace_cuda_outERKN3c106ScalarES6_ldRNS1_6TensorEENKUlvE0_clEvENKUlvE0_clEvEUllE_EEvT_T0_PN15function_traitsISD_E11result_typeE
    .private_segment_fixed_size: 0
    .sgpr_count:     21
    .sgpr_spill_count: 0
    .symbol:         _ZN12_GLOBAL__N_141elementwise_kernel_with_index_grid_strideIiZZZN2at6native17logspace_cuda_outERKN3c106ScalarES6_ldRNS1_6TensorEENKUlvE0_clEvENKUlvE0_clEvEUllE_EEvT_T0_PN15function_traitsISD_E11result_typeE.kd
    .uniform_work_group_size: 1
    .uses_dynamic_stack: false
    .vgpr_count:     20
    .vgpr_spill_count: 0
    .wavefront_size: 32
    .workgroup_processor_mode: 1
  - .args:
      - .offset:         0
        .size:           8
        .value_kind:     by_value
      - .offset:         8
        .size:           40
        .value_kind:     by_value
      - .address_space:  global
        .offset:         48
        .size:           8
        .value_kind:     global_buffer
      - .offset:         56
        .size:           4
        .value_kind:     hidden_block_count_x
      - .offset:         60
        .size:           4
        .value_kind:     hidden_block_count_y
      - .offset:         64
        .size:           4
        .value_kind:     hidden_block_count_z
      - .offset:         68
        .size:           2
        .value_kind:     hidden_group_size_x
      - .offset:         70
        .size:           2
        .value_kind:     hidden_group_size_y
      - .offset:         72
        .size:           2
        .value_kind:     hidden_group_size_z
      - .offset:         74
        .size:           2
        .value_kind:     hidden_remainder_x
      - .offset:         76
        .size:           2
        .value_kind:     hidden_remainder_y
      - .offset:         78
        .size:           2
        .value_kind:     hidden_remainder_z
      - .offset:         96
        .size:           8
        .value_kind:     hidden_global_offset_x
      - .offset:         104
        .size:           8
        .value_kind:     hidden_global_offset_y
      - .offset:         112
        .size:           8
        .value_kind:     hidden_global_offset_z
      - .offset:         120
        .size:           2
        .value_kind:     hidden_grid_dims
    .group_segment_fixed_size: 0
    .kernarg_segment_align: 8
    .kernarg_segment_size: 312
    .language:       OpenCL C
    .language_version:
      - 2
      - 0
    .max_flat_workgroup_size: 128
    .name:           _ZN12_GLOBAL__N_141elementwise_kernel_with_index_grid_strideIlZZZN2at6native17logspace_cuda_outERKN3c106ScalarES6_ldRNS1_6TensorEENKUlvE0_clEvENKUlvE0_clEvEUllE_EEvT_T0_PN15function_traitsISD_E11result_typeE
    .private_segment_fixed_size: 0
    .sgpr_count:     22
    .sgpr_spill_count: 0
    .symbol:         _ZN12_GLOBAL__N_141elementwise_kernel_with_index_grid_strideIlZZZN2at6native17logspace_cuda_outERKN3c106ScalarES6_ldRNS1_6TensorEENKUlvE0_clEvENKUlvE0_clEvEUllE_EEvT_T0_PN15function_traitsISD_E11result_typeE.kd
    .uniform_work_group_size: 1
    .uses_dynamic_stack: false
    .vgpr_count:     20
    .vgpr_spill_count: 0
    .wavefront_size: 32
    .workgroup_processor_mode: 1
  - .args:
      - .offset:         0
        .size:           4
        .value_kind:     by_value
      - .offset:         16
        .size:           96
        .value_kind:     by_value
      - .address_space:  global
        .offset:         112
        .size:           8
        .value_kind:     global_buffer
      - .offset:         120
        .size:           4
        .value_kind:     hidden_block_count_x
      - .offset:         124
        .size:           4
        .value_kind:     hidden_block_count_y
      - .offset:         128
        .size:           4
        .value_kind:     hidden_block_count_z
      - .offset:         132
        .size:           2
        .value_kind:     hidden_group_size_x
      - .offset:         134
        .size:           2
        .value_kind:     hidden_group_size_y
      - .offset:         136
        .size:           2
        .value_kind:     hidden_group_size_z
      - .offset:         138
        .size:           2
        .value_kind:     hidden_remainder_x
      - .offset:         140
        .size:           2
        .value_kind:     hidden_remainder_y
      - .offset:         142
        .size:           2
        .value_kind:     hidden_remainder_z
      - .offset:         160
        .size:           8
        .value_kind:     hidden_global_offset_x
      - .offset:         168
        .size:           8
        .value_kind:     hidden_global_offset_y
      - .offset:         176
        .size:           8
        .value_kind:     hidden_global_offset_z
      - .offset:         184
        .size:           2
        .value_kind:     hidden_grid_dims
    .group_segment_fixed_size: 0
    .kernarg_segment_align: 16
    .kernarg_segment_size: 376
    .language:       OpenCL C
    .language_version:
      - 2
      - 0
    .max_flat_workgroup_size: 128
    .name:           _ZN12_GLOBAL__N_141elementwise_kernel_with_index_grid_strideIiZZZN2at6native17logspace_cuda_outERKN3c106ScalarES6_ldRNS1_6TensorEENKUlvE0_clEvENKUlvE1_clEvEUllE_EEvT_T0_PN15function_traitsISD_E11result_typeE
    .private_segment_fixed_size: 0
    .sgpr_count:     51
    .sgpr_spill_count: 0
    .symbol:         _ZN12_GLOBAL__N_141elementwise_kernel_with_index_grid_strideIiZZZN2at6native17logspace_cuda_outERKN3c106ScalarES6_ldRNS1_6TensorEENKUlvE0_clEvENKUlvE1_clEvEUllE_EEvT_T0_PN15function_traitsISD_E11result_typeE.kd
    .uniform_work_group_size: 1
    .uses_dynamic_stack: false
    .vgpr_count:     68
    .vgpr_spill_count: 0
    .wavefront_size: 32
    .workgroup_processor_mode: 1
  - .args:
      - .offset:         0
        .size:           8
        .value_kind:     by_value
      - .offset:         16
        .size:           96
        .value_kind:     by_value
      - .address_space:  global
        .offset:         112
        .size:           8
        .value_kind:     global_buffer
      - .offset:         120
        .size:           4
        .value_kind:     hidden_block_count_x
      - .offset:         124
        .size:           4
        .value_kind:     hidden_block_count_y
      - .offset:         128
        .size:           4
        .value_kind:     hidden_block_count_z
      - .offset:         132
        .size:           2
        .value_kind:     hidden_group_size_x
      - .offset:         134
        .size:           2
        .value_kind:     hidden_group_size_y
      - .offset:         136
        .size:           2
        .value_kind:     hidden_group_size_z
      - .offset:         138
        .size:           2
        .value_kind:     hidden_remainder_x
      - .offset:         140
        .size:           2
        .value_kind:     hidden_remainder_y
      - .offset:         142
        .size:           2
        .value_kind:     hidden_remainder_z
      - .offset:         160
        .size:           8
        .value_kind:     hidden_global_offset_x
      - .offset:         168
        .size:           8
        .value_kind:     hidden_global_offset_y
      - .offset:         176
        .size:           8
        .value_kind:     hidden_global_offset_z
      - .offset:         184
        .size:           2
        .value_kind:     hidden_grid_dims
    .group_segment_fixed_size: 0
    .kernarg_segment_align: 16
    .kernarg_segment_size: 376
    .language:       OpenCL C
    .language_version:
      - 2
      - 0
    .max_flat_workgroup_size: 128
    .name:           _ZN12_GLOBAL__N_141elementwise_kernel_with_index_grid_strideIlZZZN2at6native17logspace_cuda_outERKN3c106ScalarES6_ldRNS1_6TensorEENKUlvE0_clEvENKUlvE1_clEvEUllE_EEvT_T0_PN15function_traitsISD_E11result_typeE
    .private_segment_fixed_size: 0
    .sgpr_count:     52
    .sgpr_spill_count: 0
    .symbol:         _ZN12_GLOBAL__N_141elementwise_kernel_with_index_grid_strideIlZZZN2at6native17logspace_cuda_outERKN3c106ScalarES6_ldRNS1_6TensorEENKUlvE0_clEvENKUlvE1_clEvEUllE_EEvT_T0_PN15function_traitsISD_E11result_typeE.kd
    .uniform_work_group_size: 1
    .uses_dynamic_stack: false
    .vgpr_count:     68
    .vgpr_spill_count: 0
    .wavefront_size: 32
    .workgroup_processor_mode: 1
  - .args:
      - .offset:         0
        .size:           4
        .value_kind:     by_value
      - .offset:         8
        .size:           48
        .value_kind:     by_value
      - .address_space:  global
        .offset:         56
        .size:           8
        .value_kind:     global_buffer
      - .offset:         64
        .size:           4
        .value_kind:     hidden_block_count_x
      - .offset:         68
        .size:           4
        .value_kind:     hidden_block_count_y
      - .offset:         72
        .size:           4
        .value_kind:     hidden_block_count_z
      - .offset:         76
        .size:           2
        .value_kind:     hidden_group_size_x
      - .offset:         78
        .size:           2
        .value_kind:     hidden_group_size_y
      - .offset:         80
        .size:           2
        .value_kind:     hidden_group_size_z
      - .offset:         82
        .size:           2
        .value_kind:     hidden_remainder_x
      - .offset:         84
        .size:           2
        .value_kind:     hidden_remainder_y
      - .offset:         86
        .size:           2
        .value_kind:     hidden_remainder_z
      - .offset:         104
        .size:           8
        .value_kind:     hidden_global_offset_x
      - .offset:         112
        .size:           8
        .value_kind:     hidden_global_offset_y
      - .offset:         120
        .size:           8
        .value_kind:     hidden_global_offset_z
      - .offset:         128
        .size:           2
        .value_kind:     hidden_grid_dims
    .group_segment_fixed_size: 0
    .kernarg_segment_align: 8
    .kernarg_segment_size: 320
    .language:       OpenCL C
    .language_version:
      - 2
      - 0
    .max_flat_workgroup_size: 128
    .name:           _ZN12_GLOBAL__N_141elementwise_kernel_with_index_grid_strideIiZZZN2at6native17logspace_cuda_outERKN3c106ScalarES6_ldRNS1_6TensorEENKUlvE0_clEvENKUlvE2_clEvEUllE_EEvT_T0_PN15function_traitsISD_E11result_typeE
    .private_segment_fixed_size: 0
    .sgpr_count:     42
    .sgpr_spill_count: 0
    .symbol:         _ZN12_GLOBAL__N_141elementwise_kernel_with_index_grid_strideIiZZZN2at6native17logspace_cuda_outERKN3c106ScalarES6_ldRNS1_6TensorEENKUlvE0_clEvENKUlvE2_clEvEUllE_EEvT_T0_PN15function_traitsISD_E11result_typeE.kd
    .uniform_work_group_size: 1
    .uses_dynamic_stack: false
    .vgpr_count:     29
    .vgpr_spill_count: 0
    .wavefront_size: 32
    .workgroup_processor_mode: 1
  - .args:
      - .offset:         0
        .size:           8
        .value_kind:     by_value
      - .offset:         8
        .size:           48
        .value_kind:     by_value
      - .address_space:  global
        .offset:         56
        .size:           8
        .value_kind:     global_buffer
      - .offset:         64
        .size:           4
        .value_kind:     hidden_block_count_x
      - .offset:         68
        .size:           4
        .value_kind:     hidden_block_count_y
      - .offset:         72
        .size:           4
        .value_kind:     hidden_block_count_z
      - .offset:         76
        .size:           2
        .value_kind:     hidden_group_size_x
      - .offset:         78
        .size:           2
        .value_kind:     hidden_group_size_y
      - .offset:         80
        .size:           2
        .value_kind:     hidden_group_size_z
      - .offset:         82
        .size:           2
        .value_kind:     hidden_remainder_x
      - .offset:         84
        .size:           2
        .value_kind:     hidden_remainder_y
      - .offset:         86
        .size:           2
        .value_kind:     hidden_remainder_z
      - .offset:         104
        .size:           8
        .value_kind:     hidden_global_offset_x
      - .offset:         112
        .size:           8
        .value_kind:     hidden_global_offset_y
      - .offset:         120
        .size:           8
        .value_kind:     hidden_global_offset_z
      - .offset:         128
        .size:           2
        .value_kind:     hidden_grid_dims
    .group_segment_fixed_size: 0
    .kernarg_segment_align: 8
    .kernarg_segment_size: 320
    .language:       OpenCL C
    .language_version:
      - 2
      - 0
    .max_flat_workgroup_size: 128
    .name:           _ZN12_GLOBAL__N_141elementwise_kernel_with_index_grid_strideIlZZZN2at6native17logspace_cuda_outERKN3c106ScalarES6_ldRNS1_6TensorEENKUlvE0_clEvENKUlvE2_clEvEUllE_EEvT_T0_PN15function_traitsISD_E11result_typeE
    .private_segment_fixed_size: 0
    .sgpr_count:     43
    .sgpr_spill_count: 0
    .symbol:         _ZN12_GLOBAL__N_141elementwise_kernel_with_index_grid_strideIlZZZN2at6native17logspace_cuda_outERKN3c106ScalarES6_ldRNS1_6TensorEENKUlvE0_clEvENKUlvE2_clEvEUllE_EEvT_T0_PN15function_traitsISD_E11result_typeE.kd
    .uniform_work_group_size: 1
    .uses_dynamic_stack: false
    .vgpr_count:     29
    .vgpr_spill_count: 0
    .wavefront_size: 32
    .workgroup_processor_mode: 1
  - .args:
      - .offset:         0
        .size:           4
        .value_kind:     by_value
      - .offset:         8
        .size:           32
        .value_kind:     by_value
      - .address_space:  global
        .offset:         40
        .size:           8
        .value_kind:     global_buffer
      - .offset:         48
        .size:           4
        .value_kind:     hidden_block_count_x
      - .offset:         52
        .size:           4
        .value_kind:     hidden_block_count_y
      - .offset:         56
        .size:           4
        .value_kind:     hidden_block_count_z
      - .offset:         60
        .size:           2
        .value_kind:     hidden_group_size_x
      - .offset:         62
        .size:           2
        .value_kind:     hidden_group_size_y
      - .offset:         64
        .size:           2
        .value_kind:     hidden_group_size_z
      - .offset:         66
        .size:           2
        .value_kind:     hidden_remainder_x
      - .offset:         68
        .size:           2
        .value_kind:     hidden_remainder_y
      - .offset:         70
        .size:           2
        .value_kind:     hidden_remainder_z
      - .offset:         88
        .size:           8
        .value_kind:     hidden_global_offset_x
      - .offset:         96
        .size:           8
        .value_kind:     hidden_global_offset_y
      - .offset:         104
        .size:           8
        .value_kind:     hidden_global_offset_z
      - .offset:         112
        .size:           2
        .value_kind:     hidden_grid_dims
    .group_segment_fixed_size: 0
    .kernarg_segment_align: 8
    .kernarg_segment_size: 304
    .language:       OpenCL C
    .language_version:
      - 2
      - 0
    .max_flat_workgroup_size: 128
    .name:           _ZN12_GLOBAL__N_141elementwise_kernel_with_index_grid_strideIiZZZN2at6native17logspace_cuda_outERKN3c106ScalarES6_ldRNS1_6TensorEENKUlvE0_clEvENKUlvE3_clEvEUllE_EEvT_T0_PN15function_traitsISD_E11result_typeE
    .private_segment_fixed_size: 0
    .sgpr_count:     20
    .sgpr_spill_count: 0
    .symbol:         _ZN12_GLOBAL__N_141elementwise_kernel_with_index_grid_strideIiZZZN2at6native17logspace_cuda_outERKN3c106ScalarES6_ldRNS1_6TensorEENKUlvE0_clEvENKUlvE3_clEvEUllE_EEvT_T0_PN15function_traitsISD_E11result_typeE.kd
    .uniform_work_group_size: 1
    .uses_dynamic_stack: false
    .vgpr_count:     21
    .vgpr_spill_count: 0
    .wavefront_size: 32
    .workgroup_processor_mode: 1
  - .args:
      - .offset:         0
        .size:           8
        .value_kind:     by_value
      - .offset:         8
        .size:           32
        .value_kind:     by_value
      - .address_space:  global
        .offset:         40
        .size:           8
        .value_kind:     global_buffer
      - .offset:         48
        .size:           4
        .value_kind:     hidden_block_count_x
      - .offset:         52
        .size:           4
        .value_kind:     hidden_block_count_y
      - .offset:         56
        .size:           4
        .value_kind:     hidden_block_count_z
      - .offset:         60
        .size:           2
        .value_kind:     hidden_group_size_x
      - .offset:         62
        .size:           2
        .value_kind:     hidden_group_size_y
      - .offset:         64
        .size:           2
        .value_kind:     hidden_group_size_z
      - .offset:         66
        .size:           2
        .value_kind:     hidden_remainder_x
      - .offset:         68
        .size:           2
        .value_kind:     hidden_remainder_y
      - .offset:         70
        .size:           2
        .value_kind:     hidden_remainder_z
      - .offset:         88
        .size:           8
        .value_kind:     hidden_global_offset_x
      - .offset:         96
        .size:           8
        .value_kind:     hidden_global_offset_y
      - .offset:         104
        .size:           8
        .value_kind:     hidden_global_offset_z
      - .offset:         112
        .size:           2
        .value_kind:     hidden_grid_dims
    .group_segment_fixed_size: 0
    .kernarg_segment_align: 8
    .kernarg_segment_size: 304
    .language:       OpenCL C
    .language_version:
      - 2
      - 0
    .max_flat_workgroup_size: 128
    .name:           _ZN12_GLOBAL__N_141elementwise_kernel_with_index_grid_strideIlZZZN2at6native17logspace_cuda_outERKN3c106ScalarES6_ldRNS1_6TensorEENKUlvE0_clEvENKUlvE3_clEvEUllE_EEvT_T0_PN15function_traitsISD_E11result_typeE
    .private_segment_fixed_size: 0
    .sgpr_count:     21
    .sgpr_spill_count: 0
    .symbol:         _ZN12_GLOBAL__N_141elementwise_kernel_with_index_grid_strideIlZZZN2at6native17logspace_cuda_outERKN3c106ScalarES6_ldRNS1_6TensorEENKUlvE0_clEvENKUlvE3_clEvEUllE_EEvT_T0_PN15function_traitsISD_E11result_typeE.kd
    .uniform_work_group_size: 1
    .uses_dynamic_stack: false
    .vgpr_count:     21
    .vgpr_spill_count: 0
    .wavefront_size: 32
    .workgroup_processor_mode: 1
  - .args:
      - .offset:         0
        .size:           4
        .value_kind:     by_value
      - .offset:         8
        .size:           32
        .value_kind:     by_value
      - .address_space:  global
        .offset:         40
        .size:           8
        .value_kind:     global_buffer
      - .offset:         48
        .size:           4
        .value_kind:     hidden_block_count_x
      - .offset:         52
        .size:           4
        .value_kind:     hidden_block_count_y
      - .offset:         56
        .size:           4
        .value_kind:     hidden_block_count_z
      - .offset:         60
        .size:           2
        .value_kind:     hidden_group_size_x
      - .offset:         62
        .size:           2
        .value_kind:     hidden_group_size_y
      - .offset:         64
        .size:           2
        .value_kind:     hidden_group_size_z
      - .offset:         66
        .size:           2
        .value_kind:     hidden_remainder_x
      - .offset:         68
        .size:           2
        .value_kind:     hidden_remainder_y
      - .offset:         70
        .size:           2
        .value_kind:     hidden_remainder_z
      - .offset:         88
        .size:           8
        .value_kind:     hidden_global_offset_x
      - .offset:         96
        .size:           8
        .value_kind:     hidden_global_offset_y
      - .offset:         104
        .size:           8
        .value_kind:     hidden_global_offset_z
      - .offset:         112
        .size:           2
        .value_kind:     hidden_grid_dims
    .group_segment_fixed_size: 0
    .kernarg_segment_align: 8
    .kernarg_segment_size: 304
    .language:       OpenCL C
    .language_version:
      - 2
      - 0
    .max_flat_workgroup_size: 128
    .name:           _ZN12_GLOBAL__N_141elementwise_kernel_with_index_grid_strideIiZZZN2at6native17logspace_cuda_outERKN3c106ScalarES6_ldRNS1_6TensorEENKUlvE0_clEvENKUlvE4_clEvEUllE_EEvT_T0_PN15function_traitsISD_E11result_typeE
    .private_segment_fixed_size: 0
    .sgpr_count:     22
    .sgpr_spill_count: 0
    .symbol:         _ZN12_GLOBAL__N_141elementwise_kernel_with_index_grid_strideIiZZZN2at6native17logspace_cuda_outERKN3c106ScalarES6_ldRNS1_6TensorEENKUlvE0_clEvENKUlvE4_clEvEUllE_EEvT_T0_PN15function_traitsISD_E11result_typeE.kd
    .uniform_work_group_size: 1
    .uses_dynamic_stack: false
    .vgpr_count:     20
    .vgpr_spill_count: 0
    .wavefront_size: 32
    .workgroup_processor_mode: 1
  - .args:
      - .offset:         0
        .size:           8
        .value_kind:     by_value
      - .offset:         8
        .size:           32
        .value_kind:     by_value
      - .address_space:  global
        .offset:         40
        .size:           8
        .value_kind:     global_buffer
      - .offset:         48
        .size:           4
        .value_kind:     hidden_block_count_x
      - .offset:         52
        .size:           4
        .value_kind:     hidden_block_count_y
      - .offset:         56
        .size:           4
        .value_kind:     hidden_block_count_z
      - .offset:         60
        .size:           2
        .value_kind:     hidden_group_size_x
      - .offset:         62
        .size:           2
        .value_kind:     hidden_group_size_y
      - .offset:         64
        .size:           2
        .value_kind:     hidden_group_size_z
      - .offset:         66
        .size:           2
        .value_kind:     hidden_remainder_x
      - .offset:         68
        .size:           2
        .value_kind:     hidden_remainder_y
      - .offset:         70
        .size:           2
        .value_kind:     hidden_remainder_z
      - .offset:         88
        .size:           8
        .value_kind:     hidden_global_offset_x
      - .offset:         96
        .size:           8
        .value_kind:     hidden_global_offset_y
      - .offset:         104
        .size:           8
        .value_kind:     hidden_global_offset_z
      - .offset:         112
        .size:           2
        .value_kind:     hidden_grid_dims
    .group_segment_fixed_size: 0
    .kernarg_segment_align: 8
    .kernarg_segment_size: 304
    .language:       OpenCL C
    .language_version:
      - 2
      - 0
    .max_flat_workgroup_size: 128
    .name:           _ZN12_GLOBAL__N_141elementwise_kernel_with_index_grid_strideIlZZZN2at6native17logspace_cuda_outERKN3c106ScalarES6_ldRNS1_6TensorEENKUlvE0_clEvENKUlvE4_clEvEUllE_EEvT_T0_PN15function_traitsISD_E11result_typeE
    .private_segment_fixed_size: 0
    .sgpr_count:     22
    .sgpr_spill_count: 0
    .symbol:         _ZN12_GLOBAL__N_141elementwise_kernel_with_index_grid_strideIlZZZN2at6native17logspace_cuda_outERKN3c106ScalarES6_ldRNS1_6TensorEENKUlvE0_clEvENKUlvE4_clEvEUllE_EEvT_T0_PN15function_traitsISD_E11result_typeE.kd
    .uniform_work_group_size: 1
    .uses_dynamic_stack: false
    .vgpr_count:     20
    .vgpr_spill_count: 0
    .wavefront_size: 32
    .workgroup_processor_mode: 1
  - .args:
      - .offset:         0
        .size:           4
        .value_kind:     by_value
      - .offset:         8
        .size:           16
        .value_kind:     by_value
      - .address_space:  global
        .offset:         24
        .size:           8
        .value_kind:     global_buffer
      - .offset:         32
        .size:           4
        .value_kind:     hidden_block_count_x
      - .offset:         36
        .size:           4
        .value_kind:     hidden_block_count_y
      - .offset:         40
        .size:           4
        .value_kind:     hidden_block_count_z
      - .offset:         44
        .size:           2
        .value_kind:     hidden_group_size_x
      - .offset:         46
        .size:           2
        .value_kind:     hidden_group_size_y
      - .offset:         48
        .size:           2
        .value_kind:     hidden_group_size_z
      - .offset:         50
        .size:           2
        .value_kind:     hidden_remainder_x
      - .offset:         52
        .size:           2
        .value_kind:     hidden_remainder_y
      - .offset:         54
        .size:           2
        .value_kind:     hidden_remainder_z
      - .offset:         72
        .size:           8
        .value_kind:     hidden_global_offset_x
      - .offset:         80
        .size:           8
        .value_kind:     hidden_global_offset_y
      - .offset:         88
        .size:           8
        .value_kind:     hidden_global_offset_z
      - .offset:         96
        .size:           2
        .value_kind:     hidden_grid_dims
    .group_segment_fixed_size: 0
    .kernarg_segment_align: 8
    .kernarg_segment_size: 288
    .language:       OpenCL C
    .language_version:
      - 2
      - 0
    .max_flat_workgroup_size: 128
    .name:           _ZN12_GLOBAL__N_141elementwise_kernel_with_index_grid_strideIiZZZN2at6native14range_cuda_outERKN3c106ScalarES6_S6_RNS1_6TensorEENKUlvE_clEvENKUlvE_clEvEUllE_EEvT_T0_PN15function_traitsISD_E11result_typeE
    .private_segment_fixed_size: 0
    .sgpr_count:     31
    .sgpr_spill_count: 0
    .symbol:         _ZN12_GLOBAL__N_141elementwise_kernel_with_index_grid_strideIiZZZN2at6native14range_cuda_outERKN3c106ScalarES6_S6_RNS1_6TensorEENKUlvE_clEvENKUlvE_clEvEUllE_EEvT_T0_PN15function_traitsISD_E11result_typeE.kd
    .uniform_work_group_size: 1
    .uses_dynamic_stack: false
    .vgpr_count:     20
    .vgpr_spill_count: 0
    .wavefront_size: 32
    .workgroup_processor_mode: 1
  - .args:
      - .offset:         0
        .size:           8
        .value_kind:     by_value
      - .offset:         8
        .size:           16
        .value_kind:     by_value
      - .address_space:  global
        .offset:         24
        .size:           8
        .value_kind:     global_buffer
      - .offset:         32
        .size:           4
        .value_kind:     hidden_block_count_x
      - .offset:         36
        .size:           4
        .value_kind:     hidden_block_count_y
      - .offset:         40
        .size:           4
        .value_kind:     hidden_block_count_z
      - .offset:         44
        .size:           2
        .value_kind:     hidden_group_size_x
      - .offset:         46
        .size:           2
        .value_kind:     hidden_group_size_y
      - .offset:         48
        .size:           2
        .value_kind:     hidden_group_size_z
      - .offset:         50
        .size:           2
        .value_kind:     hidden_remainder_x
      - .offset:         52
        .size:           2
        .value_kind:     hidden_remainder_y
      - .offset:         54
        .size:           2
        .value_kind:     hidden_remainder_z
      - .offset:         72
        .size:           8
        .value_kind:     hidden_global_offset_x
      - .offset:         80
        .size:           8
        .value_kind:     hidden_global_offset_y
      - .offset:         88
        .size:           8
        .value_kind:     hidden_global_offset_z
      - .offset:         96
        .size:           2
        .value_kind:     hidden_grid_dims
    .group_segment_fixed_size: 0
    .kernarg_segment_align: 8
    .kernarg_segment_size: 288
    .language:       OpenCL C
    .language_version:
      - 2
      - 0
    .max_flat_workgroup_size: 128
    .name:           _ZN12_GLOBAL__N_141elementwise_kernel_with_index_grid_strideIlZZZN2at6native14range_cuda_outERKN3c106ScalarES6_S6_RNS1_6TensorEENKUlvE_clEvENKUlvE_clEvEUllE_EEvT_T0_PN15function_traitsISD_E11result_typeE
    .private_segment_fixed_size: 0
    .sgpr_count:     46
    .sgpr_spill_count: 0
    .symbol:         _ZN12_GLOBAL__N_141elementwise_kernel_with_index_grid_strideIlZZZN2at6native14range_cuda_outERKN3c106ScalarES6_S6_RNS1_6TensorEENKUlvE_clEvENKUlvE_clEvEUllE_EEvT_T0_PN15function_traitsISD_E11result_typeE.kd
    .uniform_work_group_size: 1
    .uses_dynamic_stack: false
    .vgpr_count:     30
    .vgpr_spill_count: 0
    .wavefront_size: 32
    .workgroup_processor_mode: 1
  - .args:
      - .offset:         0
        .size:           4
        .value_kind:     by_value
      - .offset:         8
        .size:           16
        .value_kind:     by_value
      - .address_space:  global
        .offset:         24
        .size:           8
        .value_kind:     global_buffer
      - .offset:         32
        .size:           4
        .value_kind:     hidden_block_count_x
      - .offset:         36
        .size:           4
        .value_kind:     hidden_block_count_y
      - .offset:         40
        .size:           4
        .value_kind:     hidden_block_count_z
      - .offset:         44
        .size:           2
        .value_kind:     hidden_group_size_x
      - .offset:         46
        .size:           2
        .value_kind:     hidden_group_size_y
      - .offset:         48
        .size:           2
        .value_kind:     hidden_group_size_z
      - .offset:         50
        .size:           2
        .value_kind:     hidden_remainder_x
      - .offset:         52
        .size:           2
        .value_kind:     hidden_remainder_y
      - .offset:         54
        .size:           2
        .value_kind:     hidden_remainder_z
      - .offset:         72
        .size:           8
        .value_kind:     hidden_global_offset_x
      - .offset:         80
        .size:           8
        .value_kind:     hidden_global_offset_y
      - .offset:         88
        .size:           8
        .value_kind:     hidden_global_offset_z
      - .offset:         96
        .size:           2
        .value_kind:     hidden_grid_dims
    .group_segment_fixed_size: 0
    .kernarg_segment_align: 8
    .kernarg_segment_size: 288
    .language:       OpenCL C
    .language_version:
      - 2
      - 0
    .max_flat_workgroup_size: 128
    .name:           _ZN12_GLOBAL__N_141elementwise_kernel_with_index_grid_strideIiZZZN2at6native14range_cuda_outERKN3c106ScalarES6_S6_RNS1_6TensorEENKUlvE_clEvENKUlvE0_clEvEUllE_EEvT_T0_PN15function_traitsISD_E11result_typeE
    .private_segment_fixed_size: 0
    .sgpr_count:     31
    .sgpr_spill_count: 0
    .symbol:         _ZN12_GLOBAL__N_141elementwise_kernel_with_index_grid_strideIiZZZN2at6native14range_cuda_outERKN3c106ScalarES6_S6_RNS1_6TensorEENKUlvE_clEvENKUlvE0_clEvEUllE_EEvT_T0_PN15function_traitsISD_E11result_typeE.kd
    .uniform_work_group_size: 1
    .uses_dynamic_stack: false
    .vgpr_count:     20
    .vgpr_spill_count: 0
    .wavefront_size: 32
    .workgroup_processor_mode: 1
  - .args:
      - .offset:         0
        .size:           8
        .value_kind:     by_value
      - .offset:         8
        .size:           16
        .value_kind:     by_value
      - .address_space:  global
        .offset:         24
        .size:           8
        .value_kind:     global_buffer
      - .offset:         32
        .size:           4
        .value_kind:     hidden_block_count_x
      - .offset:         36
        .size:           4
        .value_kind:     hidden_block_count_y
      - .offset:         40
        .size:           4
        .value_kind:     hidden_block_count_z
      - .offset:         44
        .size:           2
        .value_kind:     hidden_group_size_x
      - .offset:         46
        .size:           2
        .value_kind:     hidden_group_size_y
      - .offset:         48
        .size:           2
        .value_kind:     hidden_group_size_z
      - .offset:         50
        .size:           2
        .value_kind:     hidden_remainder_x
      - .offset:         52
        .size:           2
        .value_kind:     hidden_remainder_y
      - .offset:         54
        .size:           2
        .value_kind:     hidden_remainder_z
      - .offset:         72
        .size:           8
        .value_kind:     hidden_global_offset_x
      - .offset:         80
        .size:           8
        .value_kind:     hidden_global_offset_y
      - .offset:         88
        .size:           8
        .value_kind:     hidden_global_offset_z
      - .offset:         96
        .size:           2
        .value_kind:     hidden_grid_dims
    .group_segment_fixed_size: 0
    .kernarg_segment_align: 8
    .kernarg_segment_size: 288
    .language:       OpenCL C
    .language_version:
      - 2
      - 0
    .max_flat_workgroup_size: 128
    .name:           _ZN12_GLOBAL__N_141elementwise_kernel_with_index_grid_strideIlZZZN2at6native14range_cuda_outERKN3c106ScalarES6_S6_RNS1_6TensorEENKUlvE_clEvENKUlvE0_clEvEUllE_EEvT_T0_PN15function_traitsISD_E11result_typeE
    .private_segment_fixed_size: 0
    .sgpr_count:     46
    .sgpr_spill_count: 0
    .symbol:         _ZN12_GLOBAL__N_141elementwise_kernel_with_index_grid_strideIlZZZN2at6native14range_cuda_outERKN3c106ScalarES6_S6_RNS1_6TensorEENKUlvE_clEvENKUlvE0_clEvEUllE_EEvT_T0_PN15function_traitsISD_E11result_typeE.kd
    .uniform_work_group_size: 1
    .uses_dynamic_stack: false
    .vgpr_count:     30
    .vgpr_spill_count: 0
    .wavefront_size: 32
    .workgroup_processor_mode: 1
  - .args:
      - .offset:         0
        .size:           4
        .value_kind:     by_value
      - .offset:         8
        .size:           16
        .value_kind:     by_value
      - .address_space:  global
        .offset:         24
        .size:           8
        .value_kind:     global_buffer
      - .offset:         32
        .size:           4
        .value_kind:     hidden_block_count_x
      - .offset:         36
        .size:           4
        .value_kind:     hidden_block_count_y
      - .offset:         40
        .size:           4
        .value_kind:     hidden_block_count_z
      - .offset:         44
        .size:           2
        .value_kind:     hidden_group_size_x
      - .offset:         46
        .size:           2
        .value_kind:     hidden_group_size_y
      - .offset:         48
        .size:           2
        .value_kind:     hidden_group_size_z
      - .offset:         50
        .size:           2
        .value_kind:     hidden_remainder_x
      - .offset:         52
        .size:           2
        .value_kind:     hidden_remainder_y
      - .offset:         54
        .size:           2
        .value_kind:     hidden_remainder_z
      - .offset:         72
        .size:           8
        .value_kind:     hidden_global_offset_x
      - .offset:         80
        .size:           8
        .value_kind:     hidden_global_offset_y
      - .offset:         88
        .size:           8
        .value_kind:     hidden_global_offset_z
      - .offset:         96
        .size:           2
        .value_kind:     hidden_grid_dims
    .group_segment_fixed_size: 0
    .kernarg_segment_align: 8
    .kernarg_segment_size: 288
    .language:       OpenCL C
    .language_version:
      - 2
      - 0
    .max_flat_workgroup_size: 128
    .name:           _ZN12_GLOBAL__N_141elementwise_kernel_with_index_grid_strideIiZZZN2at6native14range_cuda_outERKN3c106ScalarES6_S6_RNS1_6TensorEENKUlvE_clEvENKUlvE1_clEvEUllE_EEvT_T0_PN15function_traitsISD_E11result_typeE
    .private_segment_fixed_size: 0
    .sgpr_count:     14
    .sgpr_spill_count: 0
    .symbol:         _ZN12_GLOBAL__N_141elementwise_kernel_with_index_grid_strideIiZZZN2at6native14range_cuda_outERKN3c106ScalarES6_S6_RNS1_6TensorEENKUlvE_clEvENKUlvE1_clEvEUllE_EEvT_T0_PN15function_traitsISD_E11result_typeE.kd
    .uniform_work_group_size: 1
    .uses_dynamic_stack: false
    .vgpr_count:     5
    .vgpr_spill_count: 0
    .wavefront_size: 32
    .workgroup_processor_mode: 1
  - .args:
      - .offset:         0
        .size:           8
        .value_kind:     by_value
      - .offset:         8
        .size:           16
        .value_kind:     by_value
      - .address_space:  global
        .offset:         24
        .size:           8
        .value_kind:     global_buffer
      - .offset:         32
        .size:           4
        .value_kind:     hidden_block_count_x
      - .offset:         36
        .size:           4
        .value_kind:     hidden_block_count_y
      - .offset:         40
        .size:           4
        .value_kind:     hidden_block_count_z
      - .offset:         44
        .size:           2
        .value_kind:     hidden_group_size_x
      - .offset:         46
        .size:           2
        .value_kind:     hidden_group_size_y
      - .offset:         48
        .size:           2
        .value_kind:     hidden_group_size_z
      - .offset:         50
        .size:           2
        .value_kind:     hidden_remainder_x
      - .offset:         52
        .size:           2
        .value_kind:     hidden_remainder_y
      - .offset:         54
        .size:           2
        .value_kind:     hidden_remainder_z
      - .offset:         72
        .size:           8
        .value_kind:     hidden_global_offset_x
      - .offset:         80
        .size:           8
        .value_kind:     hidden_global_offset_y
      - .offset:         88
        .size:           8
        .value_kind:     hidden_global_offset_z
      - .offset:         96
        .size:           2
        .value_kind:     hidden_grid_dims
    .group_segment_fixed_size: 0
    .kernarg_segment_align: 8
    .kernarg_segment_size: 288
    .language:       OpenCL C
    .language_version:
      - 2
      - 0
    .max_flat_workgroup_size: 128
    .name:           _ZN12_GLOBAL__N_141elementwise_kernel_with_index_grid_strideIlZZZN2at6native14range_cuda_outERKN3c106ScalarES6_S6_RNS1_6TensorEENKUlvE_clEvENKUlvE1_clEvEUllE_EEvT_T0_PN15function_traitsISD_E11result_typeE
    .private_segment_fixed_size: 0
    .sgpr_count:     18
    .sgpr_spill_count: 0
    .symbol:         _ZN12_GLOBAL__N_141elementwise_kernel_with_index_grid_strideIlZZZN2at6native14range_cuda_outERKN3c106ScalarES6_S6_RNS1_6TensorEENKUlvE_clEvENKUlvE1_clEvEUllE_EEvT_T0_PN15function_traitsISD_E11result_typeE.kd
    .uniform_work_group_size: 1
    .uses_dynamic_stack: false
    .vgpr_count:     7
    .vgpr_spill_count: 0
    .wavefront_size: 32
    .workgroup_processor_mode: 1
  - .args:
      - .offset:         0
        .size:           4
        .value_kind:     by_value
      - .offset:         8
        .size:           16
        .value_kind:     by_value
      - .address_space:  global
        .offset:         24
        .size:           8
        .value_kind:     global_buffer
      - .offset:         32
        .size:           4
        .value_kind:     hidden_block_count_x
      - .offset:         36
        .size:           4
        .value_kind:     hidden_block_count_y
      - .offset:         40
        .size:           4
        .value_kind:     hidden_block_count_z
      - .offset:         44
        .size:           2
        .value_kind:     hidden_group_size_x
      - .offset:         46
        .size:           2
        .value_kind:     hidden_group_size_y
      - .offset:         48
        .size:           2
        .value_kind:     hidden_group_size_z
      - .offset:         50
        .size:           2
        .value_kind:     hidden_remainder_x
      - .offset:         52
        .size:           2
        .value_kind:     hidden_remainder_y
      - .offset:         54
        .size:           2
        .value_kind:     hidden_remainder_z
      - .offset:         72
        .size:           8
        .value_kind:     hidden_global_offset_x
      - .offset:         80
        .size:           8
        .value_kind:     hidden_global_offset_y
      - .offset:         88
        .size:           8
        .value_kind:     hidden_global_offset_z
      - .offset:         96
        .size:           2
        .value_kind:     hidden_grid_dims
    .group_segment_fixed_size: 0
    .kernarg_segment_align: 8
    .kernarg_segment_size: 288
    .language:       OpenCL C
    .language_version:
      - 2
      - 0
    .max_flat_workgroup_size: 128
    .name:           _ZN12_GLOBAL__N_141elementwise_kernel_with_index_grid_strideIiZZZN2at6native14range_cuda_outERKN3c106ScalarES6_S6_RNS1_6TensorEENKUlvE_clEvENKUlvE2_clEvEUllE_EEvT_T0_PN15function_traitsISD_E11result_typeE
    .private_segment_fixed_size: 0
    .sgpr_count:     14
    .sgpr_spill_count: 0
    .symbol:         _ZN12_GLOBAL__N_141elementwise_kernel_with_index_grid_strideIiZZZN2at6native14range_cuda_outERKN3c106ScalarES6_S6_RNS1_6TensorEENKUlvE_clEvENKUlvE2_clEvEUllE_EEvT_T0_PN15function_traitsISD_E11result_typeE.kd
    .uniform_work_group_size: 1
    .uses_dynamic_stack: false
    .vgpr_count:     7
    .vgpr_spill_count: 0
    .wavefront_size: 32
    .workgroup_processor_mode: 1
  - .args:
      - .offset:         0
        .size:           8
        .value_kind:     by_value
      - .offset:         8
        .size:           16
        .value_kind:     by_value
      - .address_space:  global
        .offset:         24
        .size:           8
        .value_kind:     global_buffer
      - .offset:         32
        .size:           4
        .value_kind:     hidden_block_count_x
      - .offset:         36
        .size:           4
        .value_kind:     hidden_block_count_y
      - .offset:         40
        .size:           4
        .value_kind:     hidden_block_count_z
      - .offset:         44
        .size:           2
        .value_kind:     hidden_group_size_x
      - .offset:         46
        .size:           2
        .value_kind:     hidden_group_size_y
      - .offset:         48
        .size:           2
        .value_kind:     hidden_group_size_z
      - .offset:         50
        .size:           2
        .value_kind:     hidden_remainder_x
      - .offset:         52
        .size:           2
        .value_kind:     hidden_remainder_y
      - .offset:         54
        .size:           2
        .value_kind:     hidden_remainder_z
      - .offset:         72
        .size:           8
        .value_kind:     hidden_global_offset_x
      - .offset:         80
        .size:           8
        .value_kind:     hidden_global_offset_y
      - .offset:         88
        .size:           8
        .value_kind:     hidden_global_offset_z
      - .offset:         96
        .size:           2
        .value_kind:     hidden_grid_dims
    .group_segment_fixed_size: 0
    .kernarg_segment_align: 8
    .kernarg_segment_size: 288
    .language:       OpenCL C
    .language_version:
      - 2
      - 0
    .max_flat_workgroup_size: 128
    .name:           _ZN12_GLOBAL__N_141elementwise_kernel_with_index_grid_strideIlZZZN2at6native14range_cuda_outERKN3c106ScalarES6_S6_RNS1_6TensorEENKUlvE_clEvENKUlvE2_clEvEUllE_EEvT_T0_PN15function_traitsISD_E11result_typeE
    .private_segment_fixed_size: 0
    .sgpr_count:     18
    .sgpr_spill_count: 0
    .symbol:         _ZN12_GLOBAL__N_141elementwise_kernel_with_index_grid_strideIlZZZN2at6native14range_cuda_outERKN3c106ScalarES6_S6_RNS1_6TensorEENKUlvE_clEvENKUlvE2_clEvEUllE_EEvT_T0_PN15function_traitsISD_E11result_typeE.kd
    .uniform_work_group_size: 1
    .uses_dynamic_stack: false
    .vgpr_count:     8
    .vgpr_spill_count: 0
    .wavefront_size: 32
    .workgroup_processor_mode: 1
  - .args:
      - .offset:         0
        .size:           4
        .value_kind:     by_value
      - .offset:         8
        .size:           16
        .value_kind:     by_value
      - .address_space:  global
        .offset:         24
        .size:           8
        .value_kind:     global_buffer
      - .offset:         32
        .size:           4
        .value_kind:     hidden_block_count_x
      - .offset:         36
        .size:           4
        .value_kind:     hidden_block_count_y
      - .offset:         40
        .size:           4
        .value_kind:     hidden_block_count_z
      - .offset:         44
        .size:           2
        .value_kind:     hidden_group_size_x
      - .offset:         46
        .size:           2
        .value_kind:     hidden_group_size_y
      - .offset:         48
        .size:           2
        .value_kind:     hidden_group_size_z
      - .offset:         50
        .size:           2
        .value_kind:     hidden_remainder_x
      - .offset:         52
        .size:           2
        .value_kind:     hidden_remainder_y
      - .offset:         54
        .size:           2
        .value_kind:     hidden_remainder_z
      - .offset:         72
        .size:           8
        .value_kind:     hidden_global_offset_x
      - .offset:         80
        .size:           8
        .value_kind:     hidden_global_offset_y
      - .offset:         88
        .size:           8
        .value_kind:     hidden_global_offset_z
      - .offset:         96
        .size:           2
        .value_kind:     hidden_grid_dims
    .group_segment_fixed_size: 0
    .kernarg_segment_align: 8
    .kernarg_segment_size: 288
    .language:       OpenCL C
    .language_version:
      - 2
      - 0
    .max_flat_workgroup_size: 128
    .name:           _ZN12_GLOBAL__N_141elementwise_kernel_with_index_grid_strideIiZZZN2at6native14range_cuda_outERKN3c106ScalarES6_S6_RNS1_6TensorEENKUlvE_clEvENKUlvE3_clEvEUllE_EEvT_T0_PN15function_traitsISD_E11result_typeE
    .private_segment_fixed_size: 0
    .sgpr_count:     19
    .sgpr_spill_count: 0
    .symbol:         _ZN12_GLOBAL__N_141elementwise_kernel_with_index_grid_strideIiZZZN2at6native14range_cuda_outERKN3c106ScalarES6_S6_RNS1_6TensorEENKUlvE_clEvENKUlvE3_clEvEUllE_EEvT_T0_PN15function_traitsISD_E11result_typeE.kd
    .uniform_work_group_size: 1
    .uses_dynamic_stack: false
    .vgpr_count:     13
    .vgpr_spill_count: 0
    .wavefront_size: 32
    .workgroup_processor_mode: 1
  - .args:
      - .offset:         0
        .size:           8
        .value_kind:     by_value
      - .offset:         8
        .size:           16
        .value_kind:     by_value
      - .address_space:  global
        .offset:         24
        .size:           8
        .value_kind:     global_buffer
      - .offset:         32
        .size:           4
        .value_kind:     hidden_block_count_x
      - .offset:         36
        .size:           4
        .value_kind:     hidden_block_count_y
      - .offset:         40
        .size:           4
        .value_kind:     hidden_block_count_z
      - .offset:         44
        .size:           2
        .value_kind:     hidden_group_size_x
      - .offset:         46
        .size:           2
        .value_kind:     hidden_group_size_y
      - .offset:         48
        .size:           2
        .value_kind:     hidden_group_size_z
      - .offset:         50
        .size:           2
        .value_kind:     hidden_remainder_x
      - .offset:         52
        .size:           2
        .value_kind:     hidden_remainder_y
      - .offset:         54
        .size:           2
        .value_kind:     hidden_remainder_z
      - .offset:         72
        .size:           8
        .value_kind:     hidden_global_offset_x
      - .offset:         80
        .size:           8
        .value_kind:     hidden_global_offset_y
      - .offset:         88
        .size:           8
        .value_kind:     hidden_global_offset_z
      - .offset:         96
        .size:           2
        .value_kind:     hidden_grid_dims
    .group_segment_fixed_size: 0
    .kernarg_segment_align: 8
    .kernarg_segment_size: 288
    .language:       OpenCL C
    .language_version:
      - 2
      - 0
    .max_flat_workgroup_size: 128
    .name:           _ZN12_GLOBAL__N_141elementwise_kernel_with_index_grid_strideIlZZZN2at6native14range_cuda_outERKN3c106ScalarES6_S6_RNS1_6TensorEENKUlvE_clEvENKUlvE3_clEvEUllE_EEvT_T0_PN15function_traitsISD_E11result_typeE
    .private_segment_fixed_size: 0
    .sgpr_count:     27
    .sgpr_spill_count: 0
    .symbol:         _ZN12_GLOBAL__N_141elementwise_kernel_with_index_grid_strideIlZZZN2at6native14range_cuda_outERKN3c106ScalarES6_S6_RNS1_6TensorEENKUlvE_clEvENKUlvE3_clEvEUllE_EEvT_T0_PN15function_traitsISD_E11result_typeE.kd
    .uniform_work_group_size: 1
    .uses_dynamic_stack: false
    .vgpr_count:     18
    .vgpr_spill_count: 0
    .wavefront_size: 32
    .workgroup_processor_mode: 1
  - .args:
      - .offset:         0
        .size:           4
        .value_kind:     by_value
      - .offset:         8
        .size:           16
        .value_kind:     by_value
      - .address_space:  global
        .offset:         24
        .size:           8
        .value_kind:     global_buffer
      - .offset:         32
        .size:           4
        .value_kind:     hidden_block_count_x
      - .offset:         36
        .size:           4
        .value_kind:     hidden_block_count_y
      - .offset:         40
        .size:           4
        .value_kind:     hidden_block_count_z
      - .offset:         44
        .size:           2
        .value_kind:     hidden_group_size_x
      - .offset:         46
        .size:           2
        .value_kind:     hidden_group_size_y
      - .offset:         48
        .size:           2
        .value_kind:     hidden_group_size_z
      - .offset:         50
        .size:           2
        .value_kind:     hidden_remainder_x
      - .offset:         52
        .size:           2
        .value_kind:     hidden_remainder_y
      - .offset:         54
        .size:           2
        .value_kind:     hidden_remainder_z
      - .offset:         72
        .size:           8
        .value_kind:     hidden_global_offset_x
      - .offset:         80
        .size:           8
        .value_kind:     hidden_global_offset_y
      - .offset:         88
        .size:           8
        .value_kind:     hidden_global_offset_z
      - .offset:         96
        .size:           2
        .value_kind:     hidden_grid_dims
    .group_segment_fixed_size: 0
    .kernarg_segment_align: 8
    .kernarg_segment_size: 288
    .language:       OpenCL C
    .language_version:
      - 2
      - 0
    .max_flat_workgroup_size: 128
    .name:           _ZN12_GLOBAL__N_141elementwise_kernel_with_index_grid_strideIiZZZN2at6native14range_cuda_outERKN3c106ScalarES6_S6_RNS1_6TensorEENKUlvE_clEvENKUlvE4_clEvEUllE_EEvT_T0_PN15function_traitsISD_E11result_typeE
    .private_segment_fixed_size: 0
    .sgpr_count:     13
    .sgpr_spill_count: 0
    .symbol:         _ZN12_GLOBAL__N_141elementwise_kernel_with_index_grid_strideIiZZZN2at6native14range_cuda_outERKN3c106ScalarES6_S6_RNS1_6TensorEENKUlvE_clEvENKUlvE4_clEvEUllE_EEvT_T0_PN15function_traitsISD_E11result_typeE.kd
    .uniform_work_group_size: 1
    .uses_dynamic_stack: false
    .vgpr_count:     5
    .vgpr_spill_count: 0
    .wavefront_size: 32
    .workgroup_processor_mode: 1
  - .args:
      - .offset:         0
        .size:           8
        .value_kind:     by_value
      - .offset:         8
        .size:           16
        .value_kind:     by_value
      - .address_space:  global
        .offset:         24
        .size:           8
        .value_kind:     global_buffer
      - .offset:         32
        .size:           4
        .value_kind:     hidden_block_count_x
      - .offset:         36
        .size:           4
        .value_kind:     hidden_block_count_y
      - .offset:         40
        .size:           4
        .value_kind:     hidden_block_count_z
      - .offset:         44
        .size:           2
        .value_kind:     hidden_group_size_x
      - .offset:         46
        .size:           2
        .value_kind:     hidden_group_size_y
      - .offset:         48
        .size:           2
        .value_kind:     hidden_group_size_z
      - .offset:         50
        .size:           2
        .value_kind:     hidden_remainder_x
      - .offset:         52
        .size:           2
        .value_kind:     hidden_remainder_y
      - .offset:         54
        .size:           2
        .value_kind:     hidden_remainder_z
      - .offset:         72
        .size:           8
        .value_kind:     hidden_global_offset_x
      - .offset:         80
        .size:           8
        .value_kind:     hidden_global_offset_y
      - .offset:         88
        .size:           8
        .value_kind:     hidden_global_offset_z
      - .offset:         96
        .size:           2
        .value_kind:     hidden_grid_dims
    .group_segment_fixed_size: 0
    .kernarg_segment_align: 8
    .kernarg_segment_size: 288
    .language:       OpenCL C
    .language_version:
      - 2
      - 0
    .max_flat_workgroup_size: 128
    .name:           _ZN12_GLOBAL__N_141elementwise_kernel_with_index_grid_strideIlZZZN2at6native14range_cuda_outERKN3c106ScalarES6_S6_RNS1_6TensorEENKUlvE_clEvENKUlvE4_clEvEUllE_EEvT_T0_PN15function_traitsISD_E11result_typeE
    .private_segment_fixed_size: 0
    .sgpr_count:     18
    .sgpr_spill_count: 0
    .symbol:         _ZN12_GLOBAL__N_141elementwise_kernel_with_index_grid_strideIlZZZN2at6native14range_cuda_outERKN3c106ScalarES6_S6_RNS1_6TensorEENKUlvE_clEvENKUlvE4_clEvEUllE_EEvT_T0_PN15function_traitsISD_E11result_typeE.kd
    .uniform_work_group_size: 1
    .uses_dynamic_stack: false
    .vgpr_count:     8
    .vgpr_spill_count: 0
    .wavefront_size: 32
    .workgroup_processor_mode: 1
  - .args:
      - .offset:         0
        .size:           4
        .value_kind:     by_value
      - .offset:         4
        .size:           8
        .value_kind:     by_value
      - .address_space:  global
        .offset:         16
        .size:           8
        .value_kind:     global_buffer
      - .offset:         24
        .size:           4
        .value_kind:     hidden_block_count_x
      - .offset:         28
        .size:           4
        .value_kind:     hidden_block_count_y
      - .offset:         32
        .size:           4
        .value_kind:     hidden_block_count_z
      - .offset:         36
        .size:           2
        .value_kind:     hidden_group_size_x
      - .offset:         38
        .size:           2
        .value_kind:     hidden_group_size_y
      - .offset:         40
        .size:           2
        .value_kind:     hidden_group_size_z
      - .offset:         42
        .size:           2
        .value_kind:     hidden_remainder_x
      - .offset:         44
        .size:           2
        .value_kind:     hidden_remainder_y
      - .offset:         46
        .size:           2
        .value_kind:     hidden_remainder_z
      - .offset:         64
        .size:           8
        .value_kind:     hidden_global_offset_x
      - .offset:         72
        .size:           8
        .value_kind:     hidden_global_offset_y
      - .offset:         80
        .size:           8
        .value_kind:     hidden_global_offset_z
      - .offset:         88
        .size:           2
        .value_kind:     hidden_grid_dims
    .group_segment_fixed_size: 0
    .kernarg_segment_align: 8
    .kernarg_segment_size: 280
    .language:       OpenCL C
    .language_version:
      - 2
      - 0
    .max_flat_workgroup_size: 128
    .name:           _ZN12_GLOBAL__N_141elementwise_kernel_with_index_grid_strideIiZZZN2at6native14range_cuda_outERKN3c106ScalarES6_S6_RNS1_6TensorEENKUlvE_clEvENKUlvE5_clEvEUllE_EEvT_T0_PN15function_traitsISD_E11result_typeE
    .private_segment_fixed_size: 0
    .sgpr_count:     14
    .sgpr_spill_count: 0
    .symbol:         _ZN12_GLOBAL__N_141elementwise_kernel_with_index_grid_strideIiZZZN2at6native14range_cuda_outERKN3c106ScalarES6_S6_RNS1_6TensorEENKUlvE_clEvENKUlvE5_clEvEUllE_EEvT_T0_PN15function_traitsISD_E11result_typeE.kd
    .uniform_work_group_size: 1
    .uses_dynamic_stack: false
    .vgpr_count:     4
    .vgpr_spill_count: 0
    .wavefront_size: 32
    .workgroup_processor_mode: 1
  - .args:
      - .offset:         0
        .size:           8
        .value_kind:     by_value
      - .offset:         8
        .size:           8
        .value_kind:     by_value
      - .address_space:  global
        .offset:         16
        .size:           8
        .value_kind:     global_buffer
      - .offset:         24
        .size:           4
        .value_kind:     hidden_block_count_x
      - .offset:         28
        .size:           4
        .value_kind:     hidden_block_count_y
      - .offset:         32
        .size:           4
        .value_kind:     hidden_block_count_z
      - .offset:         36
        .size:           2
        .value_kind:     hidden_group_size_x
      - .offset:         38
        .size:           2
        .value_kind:     hidden_group_size_y
      - .offset:         40
        .size:           2
        .value_kind:     hidden_group_size_z
      - .offset:         42
        .size:           2
        .value_kind:     hidden_remainder_x
      - .offset:         44
        .size:           2
        .value_kind:     hidden_remainder_y
      - .offset:         46
        .size:           2
        .value_kind:     hidden_remainder_z
      - .offset:         64
        .size:           8
        .value_kind:     hidden_global_offset_x
      - .offset:         72
        .size:           8
        .value_kind:     hidden_global_offset_y
      - .offset:         80
        .size:           8
        .value_kind:     hidden_global_offset_z
      - .offset:         88
        .size:           2
        .value_kind:     hidden_grid_dims
    .group_segment_fixed_size: 0
    .kernarg_segment_align: 8
    .kernarg_segment_size: 280
    .language:       OpenCL C
    .language_version:
      - 2
      - 0
    .max_flat_workgroup_size: 128
    .name:           _ZN12_GLOBAL__N_141elementwise_kernel_with_index_grid_strideIlZZZN2at6native14range_cuda_outERKN3c106ScalarES6_S6_RNS1_6TensorEENKUlvE_clEvENKUlvE5_clEvEUllE_EEvT_T0_PN15function_traitsISD_E11result_typeE
    .private_segment_fixed_size: 0
    .sgpr_count:     12
    .sgpr_spill_count: 0
    .symbol:         _ZN12_GLOBAL__N_141elementwise_kernel_with_index_grid_strideIlZZZN2at6native14range_cuda_outERKN3c106ScalarES6_S6_RNS1_6TensorEENKUlvE_clEvENKUlvE5_clEvEUllE_EEvT_T0_PN15function_traitsISD_E11result_typeE.kd
    .uniform_work_group_size: 1
    .uses_dynamic_stack: false
    .vgpr_count:     7
    .vgpr_spill_count: 0
    .wavefront_size: 32
    .workgroup_processor_mode: 1
  - .args:
      - .offset:         0
        .size:           4
        .value_kind:     by_value
      - .offset:         4
        .size:           8
        .value_kind:     by_value
      - .address_space:  global
        .offset:         16
        .size:           8
        .value_kind:     global_buffer
      - .offset:         24
        .size:           4
        .value_kind:     hidden_block_count_x
      - .offset:         28
        .size:           4
        .value_kind:     hidden_block_count_y
      - .offset:         32
        .size:           4
        .value_kind:     hidden_block_count_z
      - .offset:         36
        .size:           2
        .value_kind:     hidden_group_size_x
      - .offset:         38
        .size:           2
        .value_kind:     hidden_group_size_y
      - .offset:         40
        .size:           2
        .value_kind:     hidden_group_size_z
      - .offset:         42
        .size:           2
        .value_kind:     hidden_remainder_x
      - .offset:         44
        .size:           2
        .value_kind:     hidden_remainder_y
      - .offset:         46
        .size:           2
        .value_kind:     hidden_remainder_z
      - .offset:         64
        .size:           8
        .value_kind:     hidden_global_offset_x
      - .offset:         72
        .size:           8
        .value_kind:     hidden_global_offset_y
      - .offset:         80
        .size:           8
        .value_kind:     hidden_global_offset_z
      - .offset:         88
        .size:           2
        .value_kind:     hidden_grid_dims
    .group_segment_fixed_size: 0
    .kernarg_segment_align: 8
    .kernarg_segment_size: 280
    .language:       OpenCL C
    .language_version:
      - 2
      - 0
    .max_flat_workgroup_size: 128
    .name:           _ZN12_GLOBAL__N_141elementwise_kernel_with_index_grid_strideIiZZZN2at6native14range_cuda_outERKN3c106ScalarES6_S6_RNS1_6TensorEENKUlvE_clEvENKUlvE6_clEvEUllE_EEvT_T0_PN15function_traitsISD_E11result_typeE
    .private_segment_fixed_size: 0
    .sgpr_count:     16
    .sgpr_spill_count: 0
    .symbol:         _ZN12_GLOBAL__N_141elementwise_kernel_with_index_grid_strideIiZZZN2at6native14range_cuda_outERKN3c106ScalarES6_S6_RNS1_6TensorEENKUlvE_clEvENKUlvE6_clEvEUllE_EEvT_T0_PN15function_traitsISD_E11result_typeE.kd
    .uniform_work_group_size: 1
    .uses_dynamic_stack: false
    .vgpr_count:     12
    .vgpr_spill_count: 0
    .wavefront_size: 32
    .workgroup_processor_mode: 1
  - .args:
      - .offset:         0
        .size:           8
        .value_kind:     by_value
      - .offset:         8
        .size:           8
        .value_kind:     by_value
      - .address_space:  global
        .offset:         16
        .size:           8
        .value_kind:     global_buffer
      - .offset:         24
        .size:           4
        .value_kind:     hidden_block_count_x
      - .offset:         28
        .size:           4
        .value_kind:     hidden_block_count_y
      - .offset:         32
        .size:           4
        .value_kind:     hidden_block_count_z
      - .offset:         36
        .size:           2
        .value_kind:     hidden_group_size_x
      - .offset:         38
        .size:           2
        .value_kind:     hidden_group_size_y
      - .offset:         40
        .size:           2
        .value_kind:     hidden_group_size_z
      - .offset:         42
        .size:           2
        .value_kind:     hidden_remainder_x
      - .offset:         44
        .size:           2
        .value_kind:     hidden_remainder_y
      - .offset:         46
        .size:           2
        .value_kind:     hidden_remainder_z
      - .offset:         64
        .size:           8
        .value_kind:     hidden_global_offset_x
      - .offset:         72
        .size:           8
        .value_kind:     hidden_global_offset_y
      - .offset:         80
        .size:           8
        .value_kind:     hidden_global_offset_z
      - .offset:         88
        .size:           2
        .value_kind:     hidden_grid_dims
    .group_segment_fixed_size: 0
    .kernarg_segment_align: 8
    .kernarg_segment_size: 280
    .language:       OpenCL C
    .language_version:
      - 2
      - 0
    .max_flat_workgroup_size: 128
    .name:           _ZN12_GLOBAL__N_141elementwise_kernel_with_index_grid_strideIlZZZN2at6native14range_cuda_outERKN3c106ScalarES6_S6_RNS1_6TensorEENKUlvE_clEvENKUlvE6_clEvEUllE_EEvT_T0_PN15function_traitsISD_E11result_typeE
    .private_segment_fixed_size: 0
    .sgpr_count:     23
    .sgpr_spill_count: 0
    .symbol:         _ZN12_GLOBAL__N_141elementwise_kernel_with_index_grid_strideIlZZZN2at6native14range_cuda_outERKN3c106ScalarES6_S6_RNS1_6TensorEENKUlvE_clEvENKUlvE6_clEvEUllE_EEvT_T0_PN15function_traitsISD_E11result_typeE.kd
    .uniform_work_group_size: 1
    .uses_dynamic_stack: false
    .vgpr_count:     22
    .vgpr_spill_count: 0
    .wavefront_size: 32
    .workgroup_processor_mode: 1
  - .args:
      - .offset:         0
        .size:           4
        .value_kind:     by_value
      - .offset:         8
        .size:           16
        .value_kind:     by_value
      - .address_space:  global
        .offset:         24
        .size:           8
        .value_kind:     global_buffer
      - .offset:         32
        .size:           4
        .value_kind:     hidden_block_count_x
      - .offset:         36
        .size:           4
        .value_kind:     hidden_block_count_y
      - .offset:         40
        .size:           4
        .value_kind:     hidden_block_count_z
      - .offset:         44
        .size:           2
        .value_kind:     hidden_group_size_x
      - .offset:         46
        .size:           2
        .value_kind:     hidden_group_size_y
      - .offset:         48
        .size:           2
        .value_kind:     hidden_group_size_z
      - .offset:         50
        .size:           2
        .value_kind:     hidden_remainder_x
      - .offset:         52
        .size:           2
        .value_kind:     hidden_remainder_y
      - .offset:         54
        .size:           2
        .value_kind:     hidden_remainder_z
      - .offset:         72
        .size:           8
        .value_kind:     hidden_global_offset_x
      - .offset:         80
        .size:           8
        .value_kind:     hidden_global_offset_y
      - .offset:         88
        .size:           8
        .value_kind:     hidden_global_offset_z
      - .offset:         96
        .size:           2
        .value_kind:     hidden_grid_dims
    .group_segment_fixed_size: 0
    .kernarg_segment_align: 8
    .kernarg_segment_size: 288
    .language:       OpenCL C
    .language_version:
      - 2
      - 0
    .max_flat_workgroup_size: 128
    .name:           _ZN12_GLOBAL__N_141elementwise_kernel_with_index_grid_strideIiZZZN2at6native15arange_cuda_outERKN3c106ScalarES6_S6_RNS1_6TensorEENKUlvE_clEvENKUlvE_clEvEUllE_EEvT_T0_PN15function_traitsISD_E11result_typeE
    .private_segment_fixed_size: 0
    .sgpr_count:     31
    .sgpr_spill_count: 0
    .symbol:         _ZN12_GLOBAL__N_141elementwise_kernel_with_index_grid_strideIiZZZN2at6native15arange_cuda_outERKN3c106ScalarES6_S6_RNS1_6TensorEENKUlvE_clEvENKUlvE_clEvEUllE_EEvT_T0_PN15function_traitsISD_E11result_typeE.kd
    .uniform_work_group_size: 1
    .uses_dynamic_stack: false
    .vgpr_count:     20
    .vgpr_spill_count: 0
    .wavefront_size: 32
    .workgroup_processor_mode: 1
  - .args:
      - .offset:         0
        .size:           8
        .value_kind:     by_value
      - .offset:         8
        .size:           16
        .value_kind:     by_value
      - .address_space:  global
        .offset:         24
        .size:           8
        .value_kind:     global_buffer
      - .offset:         32
        .size:           4
        .value_kind:     hidden_block_count_x
      - .offset:         36
        .size:           4
        .value_kind:     hidden_block_count_y
      - .offset:         40
        .size:           4
        .value_kind:     hidden_block_count_z
      - .offset:         44
        .size:           2
        .value_kind:     hidden_group_size_x
      - .offset:         46
        .size:           2
        .value_kind:     hidden_group_size_y
      - .offset:         48
        .size:           2
        .value_kind:     hidden_group_size_z
      - .offset:         50
        .size:           2
        .value_kind:     hidden_remainder_x
      - .offset:         52
        .size:           2
        .value_kind:     hidden_remainder_y
      - .offset:         54
        .size:           2
        .value_kind:     hidden_remainder_z
      - .offset:         72
        .size:           8
        .value_kind:     hidden_global_offset_x
      - .offset:         80
        .size:           8
        .value_kind:     hidden_global_offset_y
      - .offset:         88
        .size:           8
        .value_kind:     hidden_global_offset_z
      - .offset:         96
        .size:           2
        .value_kind:     hidden_grid_dims
    .group_segment_fixed_size: 0
    .kernarg_segment_align: 8
    .kernarg_segment_size: 288
    .language:       OpenCL C
    .language_version:
      - 2
      - 0
    .max_flat_workgroup_size: 128
    .name:           _ZN12_GLOBAL__N_141elementwise_kernel_with_index_grid_strideIlZZZN2at6native15arange_cuda_outERKN3c106ScalarES6_S6_RNS1_6TensorEENKUlvE_clEvENKUlvE_clEvEUllE_EEvT_T0_PN15function_traitsISD_E11result_typeE
    .private_segment_fixed_size: 0
    .sgpr_count:     46
    .sgpr_spill_count: 0
    .symbol:         _ZN12_GLOBAL__N_141elementwise_kernel_with_index_grid_strideIlZZZN2at6native15arange_cuda_outERKN3c106ScalarES6_S6_RNS1_6TensorEENKUlvE_clEvENKUlvE_clEvEUllE_EEvT_T0_PN15function_traitsISD_E11result_typeE.kd
    .uniform_work_group_size: 1
    .uses_dynamic_stack: false
    .vgpr_count:     30
    .vgpr_spill_count: 0
    .wavefront_size: 32
    .workgroup_processor_mode: 1
  - .args:
      - .offset:         0
        .size:           4
        .value_kind:     by_value
      - .offset:         8
        .size:           16
        .value_kind:     by_value
      - .address_space:  global
        .offset:         24
        .size:           8
        .value_kind:     global_buffer
      - .offset:         32
        .size:           4
        .value_kind:     hidden_block_count_x
      - .offset:         36
        .size:           4
        .value_kind:     hidden_block_count_y
      - .offset:         40
        .size:           4
        .value_kind:     hidden_block_count_z
      - .offset:         44
        .size:           2
        .value_kind:     hidden_group_size_x
      - .offset:         46
        .size:           2
        .value_kind:     hidden_group_size_y
      - .offset:         48
        .size:           2
        .value_kind:     hidden_group_size_z
      - .offset:         50
        .size:           2
        .value_kind:     hidden_remainder_x
      - .offset:         52
        .size:           2
        .value_kind:     hidden_remainder_y
      - .offset:         54
        .size:           2
        .value_kind:     hidden_remainder_z
      - .offset:         72
        .size:           8
        .value_kind:     hidden_global_offset_x
      - .offset:         80
        .size:           8
        .value_kind:     hidden_global_offset_y
      - .offset:         88
        .size:           8
        .value_kind:     hidden_global_offset_z
      - .offset:         96
        .size:           2
        .value_kind:     hidden_grid_dims
    .group_segment_fixed_size: 0
    .kernarg_segment_align: 8
    .kernarg_segment_size: 288
    .language:       OpenCL C
    .language_version:
      - 2
      - 0
    .max_flat_workgroup_size: 128
    .name:           _ZN12_GLOBAL__N_141elementwise_kernel_with_index_grid_strideIiZZZN2at6native15arange_cuda_outERKN3c106ScalarES6_S6_RNS1_6TensorEENKUlvE_clEvENKUlvE0_clEvEUllE_EEvT_T0_PN15function_traitsISD_E11result_typeE
    .private_segment_fixed_size: 0
    .sgpr_count:     31
    .sgpr_spill_count: 0
    .symbol:         _ZN12_GLOBAL__N_141elementwise_kernel_with_index_grid_strideIiZZZN2at6native15arange_cuda_outERKN3c106ScalarES6_S6_RNS1_6TensorEENKUlvE_clEvENKUlvE0_clEvEUllE_EEvT_T0_PN15function_traitsISD_E11result_typeE.kd
    .uniform_work_group_size: 1
    .uses_dynamic_stack: false
    .vgpr_count:     20
    .vgpr_spill_count: 0
    .wavefront_size: 32
    .workgroup_processor_mode: 1
  - .args:
      - .offset:         0
        .size:           8
        .value_kind:     by_value
      - .offset:         8
        .size:           16
        .value_kind:     by_value
      - .address_space:  global
        .offset:         24
        .size:           8
        .value_kind:     global_buffer
      - .offset:         32
        .size:           4
        .value_kind:     hidden_block_count_x
      - .offset:         36
        .size:           4
        .value_kind:     hidden_block_count_y
      - .offset:         40
        .size:           4
        .value_kind:     hidden_block_count_z
      - .offset:         44
        .size:           2
        .value_kind:     hidden_group_size_x
      - .offset:         46
        .size:           2
        .value_kind:     hidden_group_size_y
      - .offset:         48
        .size:           2
        .value_kind:     hidden_group_size_z
      - .offset:         50
        .size:           2
        .value_kind:     hidden_remainder_x
      - .offset:         52
        .size:           2
        .value_kind:     hidden_remainder_y
      - .offset:         54
        .size:           2
        .value_kind:     hidden_remainder_z
      - .offset:         72
        .size:           8
        .value_kind:     hidden_global_offset_x
      - .offset:         80
        .size:           8
        .value_kind:     hidden_global_offset_y
      - .offset:         88
        .size:           8
        .value_kind:     hidden_global_offset_z
      - .offset:         96
        .size:           2
        .value_kind:     hidden_grid_dims
    .group_segment_fixed_size: 0
    .kernarg_segment_align: 8
    .kernarg_segment_size: 288
    .language:       OpenCL C
    .language_version:
      - 2
      - 0
    .max_flat_workgroup_size: 128
    .name:           _ZN12_GLOBAL__N_141elementwise_kernel_with_index_grid_strideIlZZZN2at6native15arange_cuda_outERKN3c106ScalarES6_S6_RNS1_6TensorEENKUlvE_clEvENKUlvE0_clEvEUllE_EEvT_T0_PN15function_traitsISD_E11result_typeE
    .private_segment_fixed_size: 0
    .sgpr_count:     46
    .sgpr_spill_count: 0
    .symbol:         _ZN12_GLOBAL__N_141elementwise_kernel_with_index_grid_strideIlZZZN2at6native15arange_cuda_outERKN3c106ScalarES6_S6_RNS1_6TensorEENKUlvE_clEvENKUlvE0_clEvEUllE_EEvT_T0_PN15function_traitsISD_E11result_typeE.kd
    .uniform_work_group_size: 1
    .uses_dynamic_stack: false
    .vgpr_count:     30
    .vgpr_spill_count: 0
    .wavefront_size: 32
    .workgroup_processor_mode: 1
  - .args:
      - .offset:         0
        .size:           4
        .value_kind:     by_value
      - .offset:         8
        .size:           16
        .value_kind:     by_value
      - .address_space:  global
        .offset:         24
        .size:           8
        .value_kind:     global_buffer
      - .offset:         32
        .size:           4
        .value_kind:     hidden_block_count_x
      - .offset:         36
        .size:           4
        .value_kind:     hidden_block_count_y
      - .offset:         40
        .size:           4
        .value_kind:     hidden_block_count_z
      - .offset:         44
        .size:           2
        .value_kind:     hidden_group_size_x
      - .offset:         46
        .size:           2
        .value_kind:     hidden_group_size_y
      - .offset:         48
        .size:           2
        .value_kind:     hidden_group_size_z
      - .offset:         50
        .size:           2
        .value_kind:     hidden_remainder_x
      - .offset:         52
        .size:           2
        .value_kind:     hidden_remainder_y
      - .offset:         54
        .size:           2
        .value_kind:     hidden_remainder_z
      - .offset:         72
        .size:           8
        .value_kind:     hidden_global_offset_x
      - .offset:         80
        .size:           8
        .value_kind:     hidden_global_offset_y
      - .offset:         88
        .size:           8
        .value_kind:     hidden_global_offset_z
      - .offset:         96
        .size:           2
        .value_kind:     hidden_grid_dims
    .group_segment_fixed_size: 0
    .kernarg_segment_align: 8
    .kernarg_segment_size: 288
    .language:       OpenCL C
    .language_version:
      - 2
      - 0
    .max_flat_workgroup_size: 128
    .name:           _ZN12_GLOBAL__N_141elementwise_kernel_with_index_grid_strideIiZZZN2at6native15arange_cuda_outERKN3c106ScalarES6_S6_RNS1_6TensorEENKUlvE_clEvENKUlvE1_clEvEUllE_EEvT_T0_PN15function_traitsISD_E11result_typeE
    .private_segment_fixed_size: 0
    .sgpr_count:     14
    .sgpr_spill_count: 0
    .symbol:         _ZN12_GLOBAL__N_141elementwise_kernel_with_index_grid_strideIiZZZN2at6native15arange_cuda_outERKN3c106ScalarES6_S6_RNS1_6TensorEENKUlvE_clEvENKUlvE1_clEvEUllE_EEvT_T0_PN15function_traitsISD_E11result_typeE.kd
    .uniform_work_group_size: 1
    .uses_dynamic_stack: false
    .vgpr_count:     5
    .vgpr_spill_count: 0
    .wavefront_size: 32
    .workgroup_processor_mode: 1
  - .args:
      - .offset:         0
        .size:           8
        .value_kind:     by_value
      - .offset:         8
        .size:           16
        .value_kind:     by_value
      - .address_space:  global
        .offset:         24
        .size:           8
        .value_kind:     global_buffer
      - .offset:         32
        .size:           4
        .value_kind:     hidden_block_count_x
      - .offset:         36
        .size:           4
        .value_kind:     hidden_block_count_y
      - .offset:         40
        .size:           4
        .value_kind:     hidden_block_count_z
      - .offset:         44
        .size:           2
        .value_kind:     hidden_group_size_x
      - .offset:         46
        .size:           2
        .value_kind:     hidden_group_size_y
      - .offset:         48
        .size:           2
        .value_kind:     hidden_group_size_z
      - .offset:         50
        .size:           2
        .value_kind:     hidden_remainder_x
      - .offset:         52
        .size:           2
        .value_kind:     hidden_remainder_y
      - .offset:         54
        .size:           2
        .value_kind:     hidden_remainder_z
      - .offset:         72
        .size:           8
        .value_kind:     hidden_global_offset_x
      - .offset:         80
        .size:           8
        .value_kind:     hidden_global_offset_y
      - .offset:         88
        .size:           8
        .value_kind:     hidden_global_offset_z
      - .offset:         96
        .size:           2
        .value_kind:     hidden_grid_dims
    .group_segment_fixed_size: 0
    .kernarg_segment_align: 8
    .kernarg_segment_size: 288
    .language:       OpenCL C
    .language_version:
      - 2
      - 0
    .max_flat_workgroup_size: 128
    .name:           _ZN12_GLOBAL__N_141elementwise_kernel_with_index_grid_strideIlZZZN2at6native15arange_cuda_outERKN3c106ScalarES6_S6_RNS1_6TensorEENKUlvE_clEvENKUlvE1_clEvEUllE_EEvT_T0_PN15function_traitsISD_E11result_typeE
    .private_segment_fixed_size: 0
    .sgpr_count:     18
    .sgpr_spill_count: 0
    .symbol:         _ZN12_GLOBAL__N_141elementwise_kernel_with_index_grid_strideIlZZZN2at6native15arange_cuda_outERKN3c106ScalarES6_S6_RNS1_6TensorEENKUlvE_clEvENKUlvE1_clEvEUllE_EEvT_T0_PN15function_traitsISD_E11result_typeE.kd
    .uniform_work_group_size: 1
    .uses_dynamic_stack: false
    .vgpr_count:     7
    .vgpr_spill_count: 0
    .wavefront_size: 32
    .workgroup_processor_mode: 1
  - .args:
      - .offset:         0
        .size:           4
        .value_kind:     by_value
      - .offset:         8
        .size:           16
        .value_kind:     by_value
      - .address_space:  global
        .offset:         24
        .size:           8
        .value_kind:     global_buffer
      - .offset:         32
        .size:           4
        .value_kind:     hidden_block_count_x
      - .offset:         36
        .size:           4
        .value_kind:     hidden_block_count_y
      - .offset:         40
        .size:           4
        .value_kind:     hidden_block_count_z
      - .offset:         44
        .size:           2
        .value_kind:     hidden_group_size_x
      - .offset:         46
        .size:           2
        .value_kind:     hidden_group_size_y
      - .offset:         48
        .size:           2
        .value_kind:     hidden_group_size_z
      - .offset:         50
        .size:           2
        .value_kind:     hidden_remainder_x
      - .offset:         52
        .size:           2
        .value_kind:     hidden_remainder_y
      - .offset:         54
        .size:           2
        .value_kind:     hidden_remainder_z
      - .offset:         72
        .size:           8
        .value_kind:     hidden_global_offset_x
      - .offset:         80
        .size:           8
        .value_kind:     hidden_global_offset_y
      - .offset:         88
        .size:           8
        .value_kind:     hidden_global_offset_z
      - .offset:         96
        .size:           2
        .value_kind:     hidden_grid_dims
    .group_segment_fixed_size: 0
    .kernarg_segment_align: 8
    .kernarg_segment_size: 288
    .language:       OpenCL C
    .language_version:
      - 2
      - 0
    .max_flat_workgroup_size: 128
    .name:           _ZN12_GLOBAL__N_141elementwise_kernel_with_index_grid_strideIiZZZN2at6native15arange_cuda_outERKN3c106ScalarES6_S6_RNS1_6TensorEENKUlvE_clEvENKUlvE2_clEvEUllE_EEvT_T0_PN15function_traitsISD_E11result_typeE
    .private_segment_fixed_size: 0
    .sgpr_count:     14
    .sgpr_spill_count: 0
    .symbol:         _ZN12_GLOBAL__N_141elementwise_kernel_with_index_grid_strideIiZZZN2at6native15arange_cuda_outERKN3c106ScalarES6_S6_RNS1_6TensorEENKUlvE_clEvENKUlvE2_clEvEUllE_EEvT_T0_PN15function_traitsISD_E11result_typeE.kd
    .uniform_work_group_size: 1
    .uses_dynamic_stack: false
    .vgpr_count:     7
    .vgpr_spill_count: 0
    .wavefront_size: 32
    .workgroup_processor_mode: 1
  - .args:
      - .offset:         0
        .size:           8
        .value_kind:     by_value
      - .offset:         8
        .size:           16
        .value_kind:     by_value
      - .address_space:  global
        .offset:         24
        .size:           8
        .value_kind:     global_buffer
      - .offset:         32
        .size:           4
        .value_kind:     hidden_block_count_x
      - .offset:         36
        .size:           4
        .value_kind:     hidden_block_count_y
      - .offset:         40
        .size:           4
        .value_kind:     hidden_block_count_z
      - .offset:         44
        .size:           2
        .value_kind:     hidden_group_size_x
      - .offset:         46
        .size:           2
        .value_kind:     hidden_group_size_y
      - .offset:         48
        .size:           2
        .value_kind:     hidden_group_size_z
      - .offset:         50
        .size:           2
        .value_kind:     hidden_remainder_x
      - .offset:         52
        .size:           2
        .value_kind:     hidden_remainder_y
      - .offset:         54
        .size:           2
        .value_kind:     hidden_remainder_z
      - .offset:         72
        .size:           8
        .value_kind:     hidden_global_offset_x
      - .offset:         80
        .size:           8
        .value_kind:     hidden_global_offset_y
      - .offset:         88
        .size:           8
        .value_kind:     hidden_global_offset_z
      - .offset:         96
        .size:           2
        .value_kind:     hidden_grid_dims
    .group_segment_fixed_size: 0
    .kernarg_segment_align: 8
    .kernarg_segment_size: 288
    .language:       OpenCL C
    .language_version:
      - 2
      - 0
    .max_flat_workgroup_size: 128
    .name:           _ZN12_GLOBAL__N_141elementwise_kernel_with_index_grid_strideIlZZZN2at6native15arange_cuda_outERKN3c106ScalarES6_S6_RNS1_6TensorEENKUlvE_clEvENKUlvE2_clEvEUllE_EEvT_T0_PN15function_traitsISD_E11result_typeE
    .private_segment_fixed_size: 0
    .sgpr_count:     18
    .sgpr_spill_count: 0
    .symbol:         _ZN12_GLOBAL__N_141elementwise_kernel_with_index_grid_strideIlZZZN2at6native15arange_cuda_outERKN3c106ScalarES6_S6_RNS1_6TensorEENKUlvE_clEvENKUlvE2_clEvEUllE_EEvT_T0_PN15function_traitsISD_E11result_typeE.kd
    .uniform_work_group_size: 1
    .uses_dynamic_stack: false
    .vgpr_count:     8
    .vgpr_spill_count: 0
    .wavefront_size: 32
    .workgroup_processor_mode: 1
  - .args:
      - .offset:         0
        .size:           4
        .value_kind:     by_value
      - .offset:         8
        .size:           16
        .value_kind:     by_value
      - .address_space:  global
        .offset:         24
        .size:           8
        .value_kind:     global_buffer
      - .offset:         32
        .size:           4
        .value_kind:     hidden_block_count_x
      - .offset:         36
        .size:           4
        .value_kind:     hidden_block_count_y
      - .offset:         40
        .size:           4
        .value_kind:     hidden_block_count_z
      - .offset:         44
        .size:           2
        .value_kind:     hidden_group_size_x
      - .offset:         46
        .size:           2
        .value_kind:     hidden_group_size_y
      - .offset:         48
        .size:           2
        .value_kind:     hidden_group_size_z
      - .offset:         50
        .size:           2
        .value_kind:     hidden_remainder_x
      - .offset:         52
        .size:           2
        .value_kind:     hidden_remainder_y
      - .offset:         54
        .size:           2
        .value_kind:     hidden_remainder_z
      - .offset:         72
        .size:           8
        .value_kind:     hidden_global_offset_x
      - .offset:         80
        .size:           8
        .value_kind:     hidden_global_offset_y
      - .offset:         88
        .size:           8
        .value_kind:     hidden_global_offset_z
      - .offset:         96
        .size:           2
        .value_kind:     hidden_grid_dims
    .group_segment_fixed_size: 0
    .kernarg_segment_align: 8
    .kernarg_segment_size: 288
    .language:       OpenCL C
    .language_version:
      - 2
      - 0
    .max_flat_workgroup_size: 128
    .name:           _ZN12_GLOBAL__N_141elementwise_kernel_with_index_grid_strideIiZZZN2at6native15arange_cuda_outERKN3c106ScalarES6_S6_RNS1_6TensorEENKUlvE_clEvENKUlvE3_clEvEUllE_EEvT_T0_PN15function_traitsISD_E11result_typeE
    .private_segment_fixed_size: 0
    .sgpr_count:     19
    .sgpr_spill_count: 0
    .symbol:         _ZN12_GLOBAL__N_141elementwise_kernel_with_index_grid_strideIiZZZN2at6native15arange_cuda_outERKN3c106ScalarES6_S6_RNS1_6TensorEENKUlvE_clEvENKUlvE3_clEvEUllE_EEvT_T0_PN15function_traitsISD_E11result_typeE.kd
    .uniform_work_group_size: 1
    .uses_dynamic_stack: false
    .vgpr_count:     13
    .vgpr_spill_count: 0
    .wavefront_size: 32
    .workgroup_processor_mode: 1
  - .args:
      - .offset:         0
        .size:           8
        .value_kind:     by_value
      - .offset:         8
        .size:           16
        .value_kind:     by_value
      - .address_space:  global
        .offset:         24
        .size:           8
        .value_kind:     global_buffer
      - .offset:         32
        .size:           4
        .value_kind:     hidden_block_count_x
      - .offset:         36
        .size:           4
        .value_kind:     hidden_block_count_y
      - .offset:         40
        .size:           4
        .value_kind:     hidden_block_count_z
      - .offset:         44
        .size:           2
        .value_kind:     hidden_group_size_x
      - .offset:         46
        .size:           2
        .value_kind:     hidden_group_size_y
      - .offset:         48
        .size:           2
        .value_kind:     hidden_group_size_z
      - .offset:         50
        .size:           2
        .value_kind:     hidden_remainder_x
      - .offset:         52
        .size:           2
        .value_kind:     hidden_remainder_y
      - .offset:         54
        .size:           2
        .value_kind:     hidden_remainder_z
      - .offset:         72
        .size:           8
        .value_kind:     hidden_global_offset_x
      - .offset:         80
        .size:           8
        .value_kind:     hidden_global_offset_y
      - .offset:         88
        .size:           8
        .value_kind:     hidden_global_offset_z
      - .offset:         96
        .size:           2
        .value_kind:     hidden_grid_dims
    .group_segment_fixed_size: 0
    .kernarg_segment_align: 8
    .kernarg_segment_size: 288
    .language:       OpenCL C
    .language_version:
      - 2
      - 0
    .max_flat_workgroup_size: 128
    .name:           _ZN12_GLOBAL__N_141elementwise_kernel_with_index_grid_strideIlZZZN2at6native15arange_cuda_outERKN3c106ScalarES6_S6_RNS1_6TensorEENKUlvE_clEvENKUlvE3_clEvEUllE_EEvT_T0_PN15function_traitsISD_E11result_typeE
    .private_segment_fixed_size: 0
    .sgpr_count:     27
    .sgpr_spill_count: 0
    .symbol:         _ZN12_GLOBAL__N_141elementwise_kernel_with_index_grid_strideIlZZZN2at6native15arange_cuda_outERKN3c106ScalarES6_S6_RNS1_6TensorEENKUlvE_clEvENKUlvE3_clEvEUllE_EEvT_T0_PN15function_traitsISD_E11result_typeE.kd
    .uniform_work_group_size: 1
    .uses_dynamic_stack: false
    .vgpr_count:     18
    .vgpr_spill_count: 0
    .wavefront_size: 32
    .workgroup_processor_mode: 1
  - .args:
      - .offset:         0
        .size:           4
        .value_kind:     by_value
      - .offset:         8
        .size:           16
        .value_kind:     by_value
      - .address_space:  global
        .offset:         24
        .size:           8
        .value_kind:     global_buffer
      - .offset:         32
        .size:           4
        .value_kind:     hidden_block_count_x
      - .offset:         36
        .size:           4
        .value_kind:     hidden_block_count_y
      - .offset:         40
        .size:           4
        .value_kind:     hidden_block_count_z
      - .offset:         44
        .size:           2
        .value_kind:     hidden_group_size_x
      - .offset:         46
        .size:           2
        .value_kind:     hidden_group_size_y
      - .offset:         48
        .size:           2
        .value_kind:     hidden_group_size_z
      - .offset:         50
        .size:           2
        .value_kind:     hidden_remainder_x
      - .offset:         52
        .size:           2
        .value_kind:     hidden_remainder_y
      - .offset:         54
        .size:           2
        .value_kind:     hidden_remainder_z
      - .offset:         72
        .size:           8
        .value_kind:     hidden_global_offset_x
      - .offset:         80
        .size:           8
        .value_kind:     hidden_global_offset_y
      - .offset:         88
        .size:           8
        .value_kind:     hidden_global_offset_z
      - .offset:         96
        .size:           2
        .value_kind:     hidden_grid_dims
    .group_segment_fixed_size: 0
    .kernarg_segment_align: 8
    .kernarg_segment_size: 288
    .language:       OpenCL C
    .language_version:
      - 2
      - 0
    .max_flat_workgroup_size: 128
    .name:           _ZN12_GLOBAL__N_141elementwise_kernel_with_index_grid_strideIiZZZN2at6native15arange_cuda_outERKN3c106ScalarES6_S6_RNS1_6TensorEENKUlvE_clEvENKUlvE4_clEvEUllE_EEvT_T0_PN15function_traitsISD_E11result_typeE
    .private_segment_fixed_size: 0
    .sgpr_count:     13
    .sgpr_spill_count: 0
    .symbol:         _ZN12_GLOBAL__N_141elementwise_kernel_with_index_grid_strideIiZZZN2at6native15arange_cuda_outERKN3c106ScalarES6_S6_RNS1_6TensorEENKUlvE_clEvENKUlvE4_clEvEUllE_EEvT_T0_PN15function_traitsISD_E11result_typeE.kd
    .uniform_work_group_size: 1
    .uses_dynamic_stack: false
    .vgpr_count:     5
    .vgpr_spill_count: 0
    .wavefront_size: 32
    .workgroup_processor_mode: 1
  - .args:
      - .offset:         0
        .size:           8
        .value_kind:     by_value
      - .offset:         8
        .size:           16
        .value_kind:     by_value
      - .address_space:  global
        .offset:         24
        .size:           8
        .value_kind:     global_buffer
      - .offset:         32
        .size:           4
        .value_kind:     hidden_block_count_x
      - .offset:         36
        .size:           4
        .value_kind:     hidden_block_count_y
      - .offset:         40
        .size:           4
        .value_kind:     hidden_block_count_z
      - .offset:         44
        .size:           2
        .value_kind:     hidden_group_size_x
      - .offset:         46
        .size:           2
        .value_kind:     hidden_group_size_y
      - .offset:         48
        .size:           2
        .value_kind:     hidden_group_size_z
      - .offset:         50
        .size:           2
        .value_kind:     hidden_remainder_x
      - .offset:         52
        .size:           2
        .value_kind:     hidden_remainder_y
      - .offset:         54
        .size:           2
        .value_kind:     hidden_remainder_z
      - .offset:         72
        .size:           8
        .value_kind:     hidden_global_offset_x
      - .offset:         80
        .size:           8
        .value_kind:     hidden_global_offset_y
      - .offset:         88
        .size:           8
        .value_kind:     hidden_global_offset_z
      - .offset:         96
        .size:           2
        .value_kind:     hidden_grid_dims
    .group_segment_fixed_size: 0
    .kernarg_segment_align: 8
    .kernarg_segment_size: 288
    .language:       OpenCL C
    .language_version:
      - 2
      - 0
    .max_flat_workgroup_size: 128
    .name:           _ZN12_GLOBAL__N_141elementwise_kernel_with_index_grid_strideIlZZZN2at6native15arange_cuda_outERKN3c106ScalarES6_S6_RNS1_6TensorEENKUlvE_clEvENKUlvE4_clEvEUllE_EEvT_T0_PN15function_traitsISD_E11result_typeE
    .private_segment_fixed_size: 0
    .sgpr_count:     18
    .sgpr_spill_count: 0
    .symbol:         _ZN12_GLOBAL__N_141elementwise_kernel_with_index_grid_strideIlZZZN2at6native15arange_cuda_outERKN3c106ScalarES6_S6_RNS1_6TensorEENKUlvE_clEvENKUlvE4_clEvEUllE_EEvT_T0_PN15function_traitsISD_E11result_typeE.kd
    .uniform_work_group_size: 1
    .uses_dynamic_stack: false
    .vgpr_count:     8
    .vgpr_spill_count: 0
    .wavefront_size: 32
    .workgroup_processor_mode: 1
  - .args:
      - .offset:         0
        .size:           4
        .value_kind:     by_value
      - .offset:         4
        .size:           8
        .value_kind:     by_value
      - .address_space:  global
        .offset:         16
        .size:           8
        .value_kind:     global_buffer
      - .offset:         24
        .size:           4
        .value_kind:     hidden_block_count_x
      - .offset:         28
        .size:           4
        .value_kind:     hidden_block_count_y
      - .offset:         32
        .size:           4
        .value_kind:     hidden_block_count_z
      - .offset:         36
        .size:           2
        .value_kind:     hidden_group_size_x
      - .offset:         38
        .size:           2
        .value_kind:     hidden_group_size_y
      - .offset:         40
        .size:           2
        .value_kind:     hidden_group_size_z
      - .offset:         42
        .size:           2
        .value_kind:     hidden_remainder_x
      - .offset:         44
        .size:           2
        .value_kind:     hidden_remainder_y
      - .offset:         46
        .size:           2
        .value_kind:     hidden_remainder_z
      - .offset:         64
        .size:           8
        .value_kind:     hidden_global_offset_x
      - .offset:         72
        .size:           8
        .value_kind:     hidden_global_offset_y
      - .offset:         80
        .size:           8
        .value_kind:     hidden_global_offset_z
      - .offset:         88
        .size:           2
        .value_kind:     hidden_grid_dims
    .group_segment_fixed_size: 0
    .kernarg_segment_align: 8
    .kernarg_segment_size: 280
    .language:       OpenCL C
    .language_version:
      - 2
      - 0
    .max_flat_workgroup_size: 128
    .name:           _ZN12_GLOBAL__N_141elementwise_kernel_with_index_grid_strideIiZZZN2at6native15arange_cuda_outERKN3c106ScalarES6_S6_RNS1_6TensorEENKUlvE_clEvENKUlvE5_clEvEUllE_EEvT_T0_PN15function_traitsISD_E11result_typeE
    .private_segment_fixed_size: 0
    .sgpr_count:     14
    .sgpr_spill_count: 0
    .symbol:         _ZN12_GLOBAL__N_141elementwise_kernel_with_index_grid_strideIiZZZN2at6native15arange_cuda_outERKN3c106ScalarES6_S6_RNS1_6TensorEENKUlvE_clEvENKUlvE5_clEvEUllE_EEvT_T0_PN15function_traitsISD_E11result_typeE.kd
    .uniform_work_group_size: 1
    .uses_dynamic_stack: false
    .vgpr_count:     4
    .vgpr_spill_count: 0
    .wavefront_size: 32
    .workgroup_processor_mode: 1
  - .args:
      - .offset:         0
        .size:           8
        .value_kind:     by_value
      - .offset:         8
        .size:           8
        .value_kind:     by_value
      - .address_space:  global
        .offset:         16
        .size:           8
        .value_kind:     global_buffer
      - .offset:         24
        .size:           4
        .value_kind:     hidden_block_count_x
      - .offset:         28
        .size:           4
        .value_kind:     hidden_block_count_y
      - .offset:         32
        .size:           4
        .value_kind:     hidden_block_count_z
      - .offset:         36
        .size:           2
        .value_kind:     hidden_group_size_x
      - .offset:         38
        .size:           2
        .value_kind:     hidden_group_size_y
      - .offset:         40
        .size:           2
        .value_kind:     hidden_group_size_z
      - .offset:         42
        .size:           2
        .value_kind:     hidden_remainder_x
      - .offset:         44
        .size:           2
        .value_kind:     hidden_remainder_y
      - .offset:         46
        .size:           2
        .value_kind:     hidden_remainder_z
      - .offset:         64
        .size:           8
        .value_kind:     hidden_global_offset_x
      - .offset:         72
        .size:           8
        .value_kind:     hidden_global_offset_y
      - .offset:         80
        .size:           8
        .value_kind:     hidden_global_offset_z
      - .offset:         88
        .size:           2
        .value_kind:     hidden_grid_dims
    .group_segment_fixed_size: 0
    .kernarg_segment_align: 8
    .kernarg_segment_size: 280
    .language:       OpenCL C
    .language_version:
      - 2
      - 0
    .max_flat_workgroup_size: 128
    .name:           _ZN12_GLOBAL__N_141elementwise_kernel_with_index_grid_strideIlZZZN2at6native15arange_cuda_outERKN3c106ScalarES6_S6_RNS1_6TensorEENKUlvE_clEvENKUlvE5_clEvEUllE_EEvT_T0_PN15function_traitsISD_E11result_typeE
    .private_segment_fixed_size: 0
    .sgpr_count:     12
    .sgpr_spill_count: 0
    .symbol:         _ZN12_GLOBAL__N_141elementwise_kernel_with_index_grid_strideIlZZZN2at6native15arange_cuda_outERKN3c106ScalarES6_S6_RNS1_6TensorEENKUlvE_clEvENKUlvE5_clEvEUllE_EEvT_T0_PN15function_traitsISD_E11result_typeE.kd
    .uniform_work_group_size: 1
    .uses_dynamic_stack: false
    .vgpr_count:     7
    .vgpr_spill_count: 0
    .wavefront_size: 32
    .workgroup_processor_mode: 1
  - .args:
      - .offset:         0
        .size:           4
        .value_kind:     by_value
      - .offset:         4
        .size:           8
        .value_kind:     by_value
      - .address_space:  global
        .offset:         16
        .size:           8
        .value_kind:     global_buffer
      - .offset:         24
        .size:           4
        .value_kind:     hidden_block_count_x
      - .offset:         28
        .size:           4
        .value_kind:     hidden_block_count_y
      - .offset:         32
        .size:           4
        .value_kind:     hidden_block_count_z
      - .offset:         36
        .size:           2
        .value_kind:     hidden_group_size_x
      - .offset:         38
        .size:           2
        .value_kind:     hidden_group_size_y
      - .offset:         40
        .size:           2
        .value_kind:     hidden_group_size_z
      - .offset:         42
        .size:           2
        .value_kind:     hidden_remainder_x
      - .offset:         44
        .size:           2
        .value_kind:     hidden_remainder_y
      - .offset:         46
        .size:           2
        .value_kind:     hidden_remainder_z
      - .offset:         64
        .size:           8
        .value_kind:     hidden_global_offset_x
      - .offset:         72
        .size:           8
        .value_kind:     hidden_global_offset_y
      - .offset:         80
        .size:           8
        .value_kind:     hidden_global_offset_z
      - .offset:         88
        .size:           2
        .value_kind:     hidden_grid_dims
    .group_segment_fixed_size: 0
    .kernarg_segment_align: 8
    .kernarg_segment_size: 280
    .language:       OpenCL C
    .language_version:
      - 2
      - 0
    .max_flat_workgroup_size: 128
    .name:           _ZN12_GLOBAL__N_141elementwise_kernel_with_index_grid_strideIiZZZN2at6native15arange_cuda_outERKN3c106ScalarES6_S6_RNS1_6TensorEENKUlvE_clEvENKUlvE6_clEvEUllE_EEvT_T0_PN15function_traitsISD_E11result_typeE
    .private_segment_fixed_size: 0
    .sgpr_count:     16
    .sgpr_spill_count: 0
    .symbol:         _ZN12_GLOBAL__N_141elementwise_kernel_with_index_grid_strideIiZZZN2at6native15arange_cuda_outERKN3c106ScalarES6_S6_RNS1_6TensorEENKUlvE_clEvENKUlvE6_clEvEUllE_EEvT_T0_PN15function_traitsISD_E11result_typeE.kd
    .uniform_work_group_size: 1
    .uses_dynamic_stack: false
    .vgpr_count:     12
    .vgpr_spill_count: 0
    .wavefront_size: 32
    .workgroup_processor_mode: 1
  - .args:
      - .offset:         0
        .size:           8
        .value_kind:     by_value
      - .offset:         8
        .size:           8
        .value_kind:     by_value
      - .address_space:  global
        .offset:         16
        .size:           8
        .value_kind:     global_buffer
      - .offset:         24
        .size:           4
        .value_kind:     hidden_block_count_x
      - .offset:         28
        .size:           4
        .value_kind:     hidden_block_count_y
      - .offset:         32
        .size:           4
        .value_kind:     hidden_block_count_z
      - .offset:         36
        .size:           2
        .value_kind:     hidden_group_size_x
      - .offset:         38
        .size:           2
        .value_kind:     hidden_group_size_y
      - .offset:         40
        .size:           2
        .value_kind:     hidden_group_size_z
      - .offset:         42
        .size:           2
        .value_kind:     hidden_remainder_x
      - .offset:         44
        .size:           2
        .value_kind:     hidden_remainder_y
      - .offset:         46
        .size:           2
        .value_kind:     hidden_remainder_z
      - .offset:         64
        .size:           8
        .value_kind:     hidden_global_offset_x
      - .offset:         72
        .size:           8
        .value_kind:     hidden_global_offset_y
      - .offset:         80
        .size:           8
        .value_kind:     hidden_global_offset_z
      - .offset:         88
        .size:           2
        .value_kind:     hidden_grid_dims
    .group_segment_fixed_size: 0
    .kernarg_segment_align: 8
    .kernarg_segment_size: 280
    .language:       OpenCL C
    .language_version:
      - 2
      - 0
    .max_flat_workgroup_size: 128
    .name:           _ZN12_GLOBAL__N_141elementwise_kernel_with_index_grid_strideIlZZZN2at6native15arange_cuda_outERKN3c106ScalarES6_S6_RNS1_6TensorEENKUlvE_clEvENKUlvE6_clEvEUllE_EEvT_T0_PN15function_traitsISD_E11result_typeE
    .private_segment_fixed_size: 0
    .sgpr_count:     23
    .sgpr_spill_count: 0
    .symbol:         _ZN12_GLOBAL__N_141elementwise_kernel_with_index_grid_strideIlZZZN2at6native15arange_cuda_outERKN3c106ScalarES6_S6_RNS1_6TensorEENKUlvE_clEvENKUlvE6_clEvEUllE_EEvT_T0_PN15function_traitsISD_E11result_typeE.kd
    .uniform_work_group_size: 1
    .uses_dynamic_stack: false
    .vgpr_count:     22
    .vgpr_spill_count: 0
    .wavefront_size: 32
    .workgroup_processor_mode: 1
  - .args:
      - .offset:         0
        .size:           4
        .value_kind:     by_value
      - .offset:         4
        .size:           8
        .value_kind:     by_value
      - .address_space:  global
        .offset:         16
        .size:           8
        .value_kind:     global_buffer
      - .offset:         24
        .size:           4
        .value_kind:     hidden_block_count_x
      - .offset:         28
        .size:           4
        .value_kind:     hidden_block_count_y
      - .offset:         32
        .size:           4
        .value_kind:     hidden_block_count_z
      - .offset:         36
        .size:           2
        .value_kind:     hidden_group_size_x
      - .offset:         38
        .size:           2
        .value_kind:     hidden_group_size_y
      - .offset:         40
        .size:           2
        .value_kind:     hidden_group_size_z
      - .offset:         42
        .size:           2
        .value_kind:     hidden_remainder_x
      - .offset:         44
        .size:           2
        .value_kind:     hidden_remainder_y
      - .offset:         46
        .size:           2
        .value_kind:     hidden_remainder_z
      - .offset:         64
        .size:           8
        .value_kind:     hidden_global_offset_x
      - .offset:         72
        .size:           8
        .value_kind:     hidden_global_offset_y
      - .offset:         80
        .size:           8
        .value_kind:     hidden_global_offset_z
      - .offset:         88
        .size:           2
        .value_kind:     hidden_grid_dims
    .group_segment_fixed_size: 0
    .kernarg_segment_align: 8
    .kernarg_segment_size: 280
    .language:       OpenCL C
    .language_version:
      - 2
      - 0
    .max_flat_workgroup_size: 128
    .name:           _ZN12_GLOBAL__N_141elementwise_kernel_with_index_grid_strideIiZZZN2at6native15arange_cuda_outERKN3c106ScalarES6_S6_RNS1_6TensorEENKUlvE_clEvENKUlvE7_clEvEUllE_EEvT_T0_PN15function_traitsISD_E11result_typeE
    .private_segment_fixed_size: 0
    .sgpr_count:     17
    .sgpr_spill_count: 0
    .symbol:         _ZN12_GLOBAL__N_141elementwise_kernel_with_index_grid_strideIiZZZN2at6native15arange_cuda_outERKN3c106ScalarES6_S6_RNS1_6TensorEENKUlvE_clEvENKUlvE7_clEvEUllE_EEvT_T0_PN15function_traitsISD_E11result_typeE.kd
    .uniform_work_group_size: 1
    .uses_dynamic_stack: false
    .vgpr_count:     15
    .vgpr_spill_count: 0
    .wavefront_size: 32
    .workgroup_processor_mode: 1
  - .args:
      - .offset:         0
        .size:           8
        .value_kind:     by_value
      - .offset:         8
        .size:           8
        .value_kind:     by_value
      - .address_space:  global
        .offset:         16
        .size:           8
        .value_kind:     global_buffer
      - .offset:         24
        .size:           4
        .value_kind:     hidden_block_count_x
      - .offset:         28
        .size:           4
        .value_kind:     hidden_block_count_y
      - .offset:         32
        .size:           4
        .value_kind:     hidden_block_count_z
      - .offset:         36
        .size:           2
        .value_kind:     hidden_group_size_x
      - .offset:         38
        .size:           2
        .value_kind:     hidden_group_size_y
      - .offset:         40
        .size:           2
        .value_kind:     hidden_group_size_z
      - .offset:         42
        .size:           2
        .value_kind:     hidden_remainder_x
      - .offset:         44
        .size:           2
        .value_kind:     hidden_remainder_y
      - .offset:         46
        .size:           2
        .value_kind:     hidden_remainder_z
      - .offset:         64
        .size:           8
        .value_kind:     hidden_global_offset_x
      - .offset:         72
        .size:           8
        .value_kind:     hidden_global_offset_y
      - .offset:         80
        .size:           8
        .value_kind:     hidden_global_offset_z
      - .offset:         88
        .size:           2
        .value_kind:     hidden_grid_dims
    .group_segment_fixed_size: 0
    .kernarg_segment_align: 8
    .kernarg_segment_size: 280
    .language:       OpenCL C
    .language_version:
      - 2
      - 0
    .max_flat_workgroup_size: 128
    .name:           _ZN12_GLOBAL__N_141elementwise_kernel_with_index_grid_strideIlZZZN2at6native15arange_cuda_outERKN3c106ScalarES6_S6_RNS1_6TensorEENKUlvE_clEvENKUlvE7_clEvEUllE_EEvT_T0_PN15function_traitsISD_E11result_typeE
    .private_segment_fixed_size: 0
    .sgpr_count:     24
    .sgpr_spill_count: 0
    .symbol:         _ZN12_GLOBAL__N_141elementwise_kernel_with_index_grid_strideIlZZZN2at6native15arange_cuda_outERKN3c106ScalarES6_S6_RNS1_6TensorEENKUlvE_clEvENKUlvE7_clEvEUllE_EEvT_T0_PN15function_traitsISD_E11result_typeE.kd
    .uniform_work_group_size: 1
    .uses_dynamic_stack: false
    .vgpr_count:     23
    .vgpr_spill_count: 0
    .wavefront_size: 32
    .workgroup_processor_mode: 1
amdhsa.target:   amdgcn-amd-amdhsa--gfx1030
amdhsa.version:
  - 1
  - 2
...

	.end_amdgpu_metadata
